;; amdgpu-corpus repo=zjin-lcf/HeCBench kind=compiled arch=gfx906 opt=O3
	.amdgcn_target "amdgcn-amd-amdhsa--gfx906"
	.amdhsa_code_object_version 6
	.section	.text._Z13relextrema_1DIiEviibPKT_Pb,"axG",@progbits,_Z13relextrema_1DIiEviibPKT_Pb,comdat
	.protected	_Z13relextrema_1DIiEviibPKT_Pb ; -- Begin function _Z13relextrema_1DIiEviibPKT_Pb
	.globl	_Z13relextrema_1DIiEviibPKT_Pb
	.p2align	8
	.type	_Z13relextrema_1DIiEviibPKT_Pb,@function
_Z13relextrema_1DIiEviibPKT_Pb:         ; @_Z13relextrema_1DIiEviibPKT_Pb
; %bb.0:
	s_load_dword s2, s[4:5], 0x2c
	s_load_dwordx4 s[8:11], s[4:5], 0x0
	s_add_u32 s0, s4, 32
	s_addc_u32 s1, s5, 0
	s_waitcnt lgkmcnt(0)
	s_and_b32 s2, s2, 0xffff
	s_mul_i32 s18, s6, s2
	v_add_u32_e32 v1, s18, v0
	v_cmp_gt_i32_e32 vcc, s8, v1
	s_and_saveexec_b64 s[6:7], vcc
	s_cbranch_execz .LBB0_6
; %bb.1:
	s_load_dword s19, s[0:1], 0x0
	s_load_dwordx4 s[12:15], s[4:5], 0x10
	s_bitcmp1_b32 s10, 0
	s_cselect_b64 s[0:1], -1, 0
	s_cmp_gt_i32 s9, 0
	s_waitcnt lgkmcnt(0)
	s_mul_i32 s19, s19, s2
	s_cselect_b64 s[2:3], -1, 0
	v_add_u32_e32 v3, -1, v0
	v_add_u32_e32 v0, 1, v0
	v_cndmask_b32_e64 v2, 0, 1, s[2:3]
	s_add_i32 s20, s8, -1
	v_add_u32_e32 v4, s8, v3
	v_subrev_u32_e32 v5, s8, v0
	s_mov_b64 s[6:7], 0
	v_cmp_ne_u32_e64 s[2:3], 1, v2
	s_branch .LBB0_3
.LBB0_2:                                ;   in Loop: Header=BB0_3 Depth=1
	v_mov_b32_e32 v7, s15
	v_add_co_u32_e32 v6, vcc, s14, v1
	v_addc_co_u32_e32 v7, vcc, v7, v2, vcc
	v_add_u32_e32 v1, s19, v1
	v_cmp_le_i32_e32 vcc, s8, v1
	v_cndmask_b32_e64 v2, 0, 1, s[10:11]
	v_add_u32_e32 v3, s19, v3
	v_add_u32_e32 v4, s19, v4
	;; [unrolled: 1-line block ×3, first 2 shown]
	s_or_b64 s[6:7], vcc, s[6:7]
	v_add_u32_e32 v5, s19, v5
	global_store_byte v[6:7], v2, off
	s_andn2_b64 exec, exec, s[6:7]
	s_cbranch_execz .LBB0_6
.LBB0_3:                                ; =>This Loop Header: Depth=1
                                        ;     Child Loop BB0_5 Depth 2
	v_ashrrev_i32_e32 v2, 31, v1
	s_and_b64 vcc, exec, s[2:3]
	s_mov_b64 s[10:11], -1
	s_cbranch_vccnz .LBB0_2
; %bb.4:                                ;   in Loop: Header=BB0_3 Depth=1
	v_lshlrev_b64 v[6:7], 2, v[1:2]
	v_mov_b32_e32 v8, s13
	v_add_co_u32_e32 v6, vcc, s12, v6
	v_addc_co_u32_e32 v7, vcc, v8, v7, vcc
	global_load_dword v6, v[6:7], off
	s_mov_b64 s[16:17], -1
	v_mov_b32_e32 v7, v5
	v_mov_b32_e32 v8, v0
	;; [unrolled: 1-line block ×4, first 2 shown]
	s_mov_b32 s21, s9
                                        ; implicit-def: $sgpr10_sgpr11
.LBB0_5:                                ;   Parent Loop BB0_3 Depth=1
                                        ; =>  This Inner Loop Header: Depth=2
	v_add_u32_e32 v11, s18, v8
	v_add_u32_e32 v13, s18, v7
	v_mov_b32_e32 v14, s20
	v_add_u32_e32 v12, s18, v10
	v_add_u32_e32 v15, s18, v9
	v_cndmask_b32_e64 v13, v13, v14, s[0:1]
	v_cmp_gt_i32_e64 s[4:5], s8, v11
	v_cndmask_b32_e64 v14, v15, 0, s[0:1]
	v_cmp_gt_i32_e32 vcc, 0, v12
	v_cndmask_b32_e64 v11, v13, v11, s[4:5]
	v_cndmask_b32_e32 v13, v12, v14, vcc
	v_ashrrev_i32_e32 v12, 31, v11
	v_lshlrev_b64 v[11:12], 2, v[11:12]
	v_ashrrev_i32_e32 v14, 31, v13
	v_mov_b32_e32 v16, s13
	v_lshlrev_b64 v[13:14], 2, v[13:14]
	v_add_co_u32_e32 v11, vcc, s12, v11
	v_addc_co_u32_e32 v12, vcc, v16, v12, vcc
	v_mov_b32_e32 v17, s13
	v_add_co_u32_e32 v13, vcc, s12, v13
	v_addc_co_u32_e32 v14, vcc, v17, v14, vcc
	global_load_dword v15, v[11:12], off
	global_load_dword v16, v[13:14], off
	s_andn2_b64 s[10:11], s[10:11], exec
	s_add_i32 s21, s21, -1
	v_add_u32_e32 v10, -1, v10
	v_add_u32_e32 v9, -1, v9
	v_add_u32_e32 v8, 1, v8
	v_add_u32_e32 v7, 1, v7
	s_waitcnt vmcnt(1)
	v_cmp_gt_i32_e32 vcc, v6, v15
	s_waitcnt vmcnt(0)
	v_cmp_ge_i32_e64 s[4:5], v6, v16
	s_and_b64 s[4:5], vcc, s[4:5]
	s_and_b64 s[16:17], s[16:17], s[4:5]
	s_and_b64 s[4:5], s[16:17], exec
	s_or_b64 s[10:11], s[10:11], s[4:5]
	s_cmp_eq_u32 s21, 0
	s_cbranch_scc0 .LBB0_5
	s_branch .LBB0_2
.LBB0_6:
	s_endpgm
	.section	.rodata,"a",@progbits
	.p2align	6, 0x0
	.amdhsa_kernel _Z13relextrema_1DIiEviibPKT_Pb
		.amdhsa_group_segment_fixed_size 0
		.amdhsa_private_segment_fixed_size 0
		.amdhsa_kernarg_size 288
		.amdhsa_user_sgpr_count 6
		.amdhsa_user_sgpr_private_segment_buffer 1
		.amdhsa_user_sgpr_dispatch_ptr 0
		.amdhsa_user_sgpr_queue_ptr 0
		.amdhsa_user_sgpr_kernarg_segment_ptr 1
		.amdhsa_user_sgpr_dispatch_id 0
		.amdhsa_user_sgpr_flat_scratch_init 0
		.amdhsa_user_sgpr_private_segment_size 0
		.amdhsa_uses_dynamic_stack 0
		.amdhsa_system_sgpr_private_segment_wavefront_offset 0
		.amdhsa_system_sgpr_workgroup_id_x 1
		.amdhsa_system_sgpr_workgroup_id_y 0
		.amdhsa_system_sgpr_workgroup_id_z 0
		.amdhsa_system_sgpr_workgroup_info 0
		.amdhsa_system_vgpr_workitem_id 0
		.amdhsa_next_free_vgpr 18
		.amdhsa_next_free_sgpr 22
		.amdhsa_reserve_vcc 1
		.amdhsa_reserve_flat_scratch 0
		.amdhsa_float_round_mode_32 0
		.amdhsa_float_round_mode_16_64 0
		.amdhsa_float_denorm_mode_32 3
		.amdhsa_float_denorm_mode_16_64 3
		.amdhsa_dx10_clamp 1
		.amdhsa_ieee_mode 1
		.amdhsa_fp16_overflow 0
		.amdhsa_exception_fp_ieee_invalid_op 0
		.amdhsa_exception_fp_denorm_src 0
		.amdhsa_exception_fp_ieee_div_zero 0
		.amdhsa_exception_fp_ieee_overflow 0
		.amdhsa_exception_fp_ieee_underflow 0
		.amdhsa_exception_fp_ieee_inexact 0
		.amdhsa_exception_int_div_zero 0
	.end_amdhsa_kernel
	.section	.text._Z13relextrema_1DIiEviibPKT_Pb,"axG",@progbits,_Z13relextrema_1DIiEviibPKT_Pb,comdat
.Lfunc_end0:
	.size	_Z13relextrema_1DIiEviibPKT_Pb, .Lfunc_end0-_Z13relextrema_1DIiEviibPKT_Pb
                                        ; -- End function
	.set _Z13relextrema_1DIiEviibPKT_Pb.num_vgpr, 18
	.set _Z13relextrema_1DIiEviibPKT_Pb.num_agpr, 0
	.set _Z13relextrema_1DIiEviibPKT_Pb.numbered_sgpr, 22
	.set _Z13relextrema_1DIiEviibPKT_Pb.num_named_barrier, 0
	.set _Z13relextrema_1DIiEviibPKT_Pb.private_seg_size, 0
	.set _Z13relextrema_1DIiEviibPKT_Pb.uses_vcc, 1
	.set _Z13relextrema_1DIiEviibPKT_Pb.uses_flat_scratch, 0
	.set _Z13relextrema_1DIiEviibPKT_Pb.has_dyn_sized_stack, 0
	.set _Z13relextrema_1DIiEviibPKT_Pb.has_recursion, 0
	.set _Z13relextrema_1DIiEviibPKT_Pb.has_indirect_call, 0
	.section	.AMDGPU.csdata,"",@progbits
; Kernel info:
; codeLenInByte = 472
; TotalNumSgprs: 26
; NumVgprs: 18
; ScratchSize: 0
; MemoryBound: 0
; FloatMode: 240
; IeeeMode: 1
; LDSByteSize: 0 bytes/workgroup (compile time only)
; SGPRBlocks: 3
; VGPRBlocks: 4
; NumSGPRsForWavesPerEU: 26
; NumVGPRsForWavesPerEU: 18
; Occupancy: 10
; WaveLimiterHint : 0
; COMPUTE_PGM_RSRC2:SCRATCH_EN: 0
; COMPUTE_PGM_RSRC2:USER_SGPR: 6
; COMPUTE_PGM_RSRC2:TRAP_HANDLER: 0
; COMPUTE_PGM_RSRC2:TGID_X_EN: 1
; COMPUTE_PGM_RSRC2:TGID_Y_EN: 0
; COMPUTE_PGM_RSRC2:TGID_Z_EN: 0
; COMPUTE_PGM_RSRC2:TIDIG_COMP_CNT: 0
	.section	.text._Z13relextrema_1DIlEviibPKT_Pb,"axG",@progbits,_Z13relextrema_1DIlEviibPKT_Pb,comdat
	.protected	_Z13relextrema_1DIlEviibPKT_Pb ; -- Begin function _Z13relextrema_1DIlEviibPKT_Pb
	.globl	_Z13relextrema_1DIlEviibPKT_Pb
	.p2align	8
	.type	_Z13relextrema_1DIlEviibPKT_Pb,@function
_Z13relextrema_1DIlEviibPKT_Pb:         ; @_Z13relextrema_1DIlEviibPKT_Pb
; %bb.0:
	s_load_dword s2, s[4:5], 0x2c
	s_load_dwordx4 s[8:11], s[4:5], 0x0
	s_add_u32 s0, s4, 32
	s_addc_u32 s1, s5, 0
	s_waitcnt lgkmcnt(0)
	s_and_b32 s2, s2, 0xffff
	s_mul_i32 s18, s6, s2
	v_add_u32_e32 v1, s18, v0
	v_cmp_gt_i32_e32 vcc, s8, v1
	s_and_saveexec_b64 s[6:7], vcc
	s_cbranch_execz .LBB1_6
; %bb.1:
	s_load_dword s19, s[0:1], 0x0
	s_load_dwordx4 s[12:15], s[4:5], 0x10
	s_bitcmp1_b32 s10, 0
	s_cselect_b64 s[0:1], -1, 0
	s_cmp_gt_i32 s9, 0
	s_waitcnt lgkmcnt(0)
	s_mul_i32 s19, s19, s2
	s_cselect_b64 s[2:3], -1, 0
	v_add_u32_e32 v5, -1, v0
	v_add_u32_e32 v0, 1, v0
	v_cndmask_b32_e64 v2, 0, 1, s[2:3]
	s_add_i32 s20, s8, -1
	v_add_u32_e32 v6, s8, v5
	v_subrev_u32_e32 v7, s8, v0
	s_mov_b64 s[6:7], 0
	v_cmp_ne_u32_e64 s[2:3], 1, v2
	s_branch .LBB1_3
.LBB1_2:                                ;   in Loop: Header=BB1_3 Depth=1
	v_mov_b32_e32 v4, s15
	v_add_co_u32_e32 v3, vcc, s14, v1
	v_addc_co_u32_e32 v4, vcc, v4, v2, vcc
	v_add_u32_e32 v1, s19, v1
	v_cmp_le_i32_e32 vcc, s8, v1
	v_cndmask_b32_e64 v2, 0, 1, s[10:11]
	v_add_u32_e32 v5, s19, v5
	v_add_u32_e32 v6, s19, v6
	v_add_u32_e32 v0, s19, v0
	s_or_b64 s[6:7], vcc, s[6:7]
	v_add_u32_e32 v7, s19, v7
	global_store_byte v[3:4], v2, off
	s_andn2_b64 exec, exec, s[6:7]
	s_cbranch_execz .LBB1_6
.LBB1_3:                                ; =>This Loop Header: Depth=1
                                        ;     Child Loop BB1_5 Depth 2
	v_ashrrev_i32_e32 v2, 31, v1
	s_and_b64 vcc, exec, s[2:3]
	s_mov_b64 s[10:11], -1
	s_cbranch_vccnz .LBB1_2
; %bb.4:                                ;   in Loop: Header=BB1_3 Depth=1
	v_lshlrev_b64 v[3:4], 3, v[1:2]
	v_mov_b32_e32 v8, s13
	v_add_co_u32_e32 v3, vcc, s12, v3
	v_addc_co_u32_e32 v4, vcc, v8, v4, vcc
	global_load_dwordx2 v[3:4], v[3:4], off
	s_mov_b64 s[16:17], -1
	v_mov_b32_e32 v8, v7
	v_mov_b32_e32 v9, v0
	;; [unrolled: 1-line block ×4, first 2 shown]
	s_mov_b32 s21, s9
                                        ; implicit-def: $sgpr10_sgpr11
.LBB1_5:                                ;   Parent Loop BB1_3 Depth=1
                                        ; =>  This Inner Loop Header: Depth=2
	v_add_u32_e32 v12, s18, v9
	v_add_u32_e32 v14, s18, v8
	v_mov_b32_e32 v15, s20
	v_add_u32_e32 v13, s18, v11
	v_add_u32_e32 v16, s18, v10
	v_cndmask_b32_e64 v14, v14, v15, s[0:1]
	v_cmp_gt_i32_e64 s[4:5], s8, v12
	v_cndmask_b32_e64 v15, v16, 0, s[0:1]
	v_cmp_gt_i32_e32 vcc, 0, v13
	v_cndmask_b32_e64 v12, v14, v12, s[4:5]
	v_cndmask_b32_e32 v14, v13, v15, vcc
	v_ashrrev_i32_e32 v13, 31, v12
	v_lshlrev_b64 v[12:13], 3, v[12:13]
	v_ashrrev_i32_e32 v15, 31, v14
	v_mov_b32_e32 v17, s13
	v_lshlrev_b64 v[14:15], 3, v[14:15]
	v_add_co_u32_e32 v12, vcc, s12, v12
	v_addc_co_u32_e32 v13, vcc, v17, v13, vcc
	v_mov_b32_e32 v18, s13
	v_add_co_u32_e32 v14, vcc, s12, v14
	v_addc_co_u32_e32 v15, vcc, v18, v15, vcc
	global_load_dwordx2 v[16:17], v[12:13], off
	global_load_dwordx2 v[18:19], v[14:15], off
	s_andn2_b64 s[10:11], s[10:11], exec
	s_add_i32 s21, s21, -1
	v_add_u32_e32 v11, -1, v11
	v_add_u32_e32 v10, -1, v10
	v_add_u32_e32 v9, 1, v9
	v_add_u32_e32 v8, 1, v8
	s_waitcnt vmcnt(1)
	v_cmp_gt_i64_e32 vcc, v[3:4], v[16:17]
	s_waitcnt vmcnt(0)
	v_cmp_ge_i64_e64 s[4:5], v[3:4], v[18:19]
	s_and_b64 s[4:5], vcc, s[4:5]
	s_and_b64 s[16:17], s[16:17], s[4:5]
	s_and_b64 s[4:5], s[16:17], exec
	s_or_b64 s[10:11], s[10:11], s[4:5]
	s_cmp_eq_u32 s21, 0
	s_cbranch_scc0 .LBB1_5
	s_branch .LBB1_2
.LBB1_6:
	s_endpgm
	.section	.rodata,"a",@progbits
	.p2align	6, 0x0
	.amdhsa_kernel _Z13relextrema_1DIlEviibPKT_Pb
		.amdhsa_group_segment_fixed_size 0
		.amdhsa_private_segment_fixed_size 0
		.amdhsa_kernarg_size 288
		.amdhsa_user_sgpr_count 6
		.amdhsa_user_sgpr_private_segment_buffer 1
		.amdhsa_user_sgpr_dispatch_ptr 0
		.amdhsa_user_sgpr_queue_ptr 0
		.amdhsa_user_sgpr_kernarg_segment_ptr 1
		.amdhsa_user_sgpr_dispatch_id 0
		.amdhsa_user_sgpr_flat_scratch_init 0
		.amdhsa_user_sgpr_private_segment_size 0
		.amdhsa_uses_dynamic_stack 0
		.amdhsa_system_sgpr_private_segment_wavefront_offset 0
		.amdhsa_system_sgpr_workgroup_id_x 1
		.amdhsa_system_sgpr_workgroup_id_y 0
		.amdhsa_system_sgpr_workgroup_id_z 0
		.amdhsa_system_sgpr_workgroup_info 0
		.amdhsa_system_vgpr_workitem_id 0
		.amdhsa_next_free_vgpr 20
		.amdhsa_next_free_sgpr 22
		.amdhsa_reserve_vcc 1
		.amdhsa_reserve_flat_scratch 0
		.amdhsa_float_round_mode_32 0
		.amdhsa_float_round_mode_16_64 0
		.amdhsa_float_denorm_mode_32 3
		.amdhsa_float_denorm_mode_16_64 3
		.amdhsa_dx10_clamp 1
		.amdhsa_ieee_mode 1
		.amdhsa_fp16_overflow 0
		.amdhsa_exception_fp_ieee_invalid_op 0
		.amdhsa_exception_fp_denorm_src 0
		.amdhsa_exception_fp_ieee_div_zero 0
		.amdhsa_exception_fp_ieee_overflow 0
		.amdhsa_exception_fp_ieee_underflow 0
		.amdhsa_exception_fp_ieee_inexact 0
		.amdhsa_exception_int_div_zero 0
	.end_amdhsa_kernel
	.section	.text._Z13relextrema_1DIlEviibPKT_Pb,"axG",@progbits,_Z13relextrema_1DIlEviibPKT_Pb,comdat
.Lfunc_end1:
	.size	_Z13relextrema_1DIlEviibPKT_Pb, .Lfunc_end1-_Z13relextrema_1DIlEviibPKT_Pb
                                        ; -- End function
	.set _Z13relextrema_1DIlEviibPKT_Pb.num_vgpr, 20
	.set _Z13relextrema_1DIlEviibPKT_Pb.num_agpr, 0
	.set _Z13relextrema_1DIlEviibPKT_Pb.numbered_sgpr, 22
	.set _Z13relextrema_1DIlEviibPKT_Pb.num_named_barrier, 0
	.set _Z13relextrema_1DIlEviibPKT_Pb.private_seg_size, 0
	.set _Z13relextrema_1DIlEviibPKT_Pb.uses_vcc, 1
	.set _Z13relextrema_1DIlEviibPKT_Pb.uses_flat_scratch, 0
	.set _Z13relextrema_1DIlEviibPKT_Pb.has_dyn_sized_stack, 0
	.set _Z13relextrema_1DIlEviibPKT_Pb.has_recursion, 0
	.set _Z13relextrema_1DIlEviibPKT_Pb.has_indirect_call, 0
	.section	.AMDGPU.csdata,"",@progbits
; Kernel info:
; codeLenInByte = 472
; TotalNumSgprs: 26
; NumVgprs: 20
; ScratchSize: 0
; MemoryBound: 0
; FloatMode: 240
; IeeeMode: 1
; LDSByteSize: 0 bytes/workgroup (compile time only)
; SGPRBlocks: 3
; VGPRBlocks: 4
; NumSGPRsForWavesPerEU: 26
; NumVGPRsForWavesPerEU: 20
; Occupancy: 10
; WaveLimiterHint : 0
; COMPUTE_PGM_RSRC2:SCRATCH_EN: 0
; COMPUTE_PGM_RSRC2:USER_SGPR: 6
; COMPUTE_PGM_RSRC2:TRAP_HANDLER: 0
; COMPUTE_PGM_RSRC2:TGID_X_EN: 1
; COMPUTE_PGM_RSRC2:TGID_Y_EN: 0
; COMPUTE_PGM_RSRC2:TGID_Z_EN: 0
; COMPUTE_PGM_RSRC2:TIDIG_COMP_CNT: 0
	.section	.text._Z13relextrema_1DIfEviibPKT_Pb,"axG",@progbits,_Z13relextrema_1DIfEviibPKT_Pb,comdat
	.protected	_Z13relextrema_1DIfEviibPKT_Pb ; -- Begin function _Z13relextrema_1DIfEviibPKT_Pb
	.globl	_Z13relextrema_1DIfEviibPKT_Pb
	.p2align	8
	.type	_Z13relextrema_1DIfEviibPKT_Pb,@function
_Z13relextrema_1DIfEviibPKT_Pb:         ; @_Z13relextrema_1DIfEviibPKT_Pb
; %bb.0:
	s_load_dword s2, s[4:5], 0x2c
	s_load_dwordx4 s[8:11], s[4:5], 0x0
	s_add_u32 s0, s4, 32
	s_addc_u32 s1, s5, 0
	s_waitcnt lgkmcnt(0)
	s_and_b32 s2, s2, 0xffff
	s_mul_i32 s18, s6, s2
	v_add_u32_e32 v1, s18, v0
	v_cmp_gt_i32_e32 vcc, s8, v1
	s_and_saveexec_b64 s[6:7], vcc
	s_cbranch_execz .LBB2_6
; %bb.1:
	s_load_dword s19, s[0:1], 0x0
	s_load_dwordx4 s[12:15], s[4:5], 0x10
	s_bitcmp1_b32 s10, 0
	s_cselect_b64 s[0:1], -1, 0
	s_cmp_gt_i32 s9, 0
	s_waitcnt lgkmcnt(0)
	s_mul_i32 s19, s19, s2
	s_cselect_b64 s[2:3], -1, 0
	v_add_u32_e32 v3, -1, v0
	v_add_u32_e32 v0, 1, v0
	v_cndmask_b32_e64 v2, 0, 1, s[2:3]
	s_add_i32 s20, s8, -1
	v_add_u32_e32 v4, s8, v3
	v_subrev_u32_e32 v5, s8, v0
	s_mov_b64 s[6:7], 0
	v_cmp_ne_u32_e64 s[2:3], 1, v2
	s_branch .LBB2_3
.LBB2_2:                                ;   in Loop: Header=BB2_3 Depth=1
	v_mov_b32_e32 v7, s15
	v_add_co_u32_e32 v6, vcc, s14, v1
	v_addc_co_u32_e32 v7, vcc, v7, v2, vcc
	v_add_u32_e32 v1, s19, v1
	v_cmp_le_i32_e32 vcc, s8, v1
	v_cndmask_b32_e64 v2, 0, 1, s[10:11]
	v_add_u32_e32 v3, s19, v3
	v_add_u32_e32 v4, s19, v4
	;; [unrolled: 1-line block ×3, first 2 shown]
	s_or_b64 s[6:7], vcc, s[6:7]
	v_add_u32_e32 v5, s19, v5
	global_store_byte v[6:7], v2, off
	s_andn2_b64 exec, exec, s[6:7]
	s_cbranch_execz .LBB2_6
.LBB2_3:                                ; =>This Loop Header: Depth=1
                                        ;     Child Loop BB2_5 Depth 2
	v_ashrrev_i32_e32 v2, 31, v1
	s_and_b64 vcc, exec, s[2:3]
	s_mov_b64 s[10:11], -1
	s_cbranch_vccnz .LBB2_2
; %bb.4:                                ;   in Loop: Header=BB2_3 Depth=1
	v_lshlrev_b64 v[6:7], 2, v[1:2]
	v_mov_b32_e32 v8, s13
	v_add_co_u32_e32 v6, vcc, s12, v6
	v_addc_co_u32_e32 v7, vcc, v8, v7, vcc
	global_load_dword v6, v[6:7], off
	s_mov_b64 s[16:17], -1
	v_mov_b32_e32 v7, v5
	v_mov_b32_e32 v8, v0
	;; [unrolled: 1-line block ×4, first 2 shown]
	s_mov_b32 s21, s9
                                        ; implicit-def: $sgpr10_sgpr11
.LBB2_5:                                ;   Parent Loop BB2_3 Depth=1
                                        ; =>  This Inner Loop Header: Depth=2
	v_add_u32_e32 v11, s18, v8
	v_add_u32_e32 v13, s18, v7
	v_mov_b32_e32 v14, s20
	v_add_u32_e32 v12, s18, v10
	v_add_u32_e32 v15, s18, v9
	v_cndmask_b32_e64 v13, v13, v14, s[0:1]
	v_cmp_gt_i32_e64 s[4:5], s8, v11
	v_cndmask_b32_e64 v14, v15, 0, s[0:1]
	v_cmp_gt_i32_e32 vcc, 0, v12
	v_cndmask_b32_e64 v11, v13, v11, s[4:5]
	v_cndmask_b32_e32 v13, v12, v14, vcc
	v_ashrrev_i32_e32 v12, 31, v11
	v_lshlrev_b64 v[11:12], 2, v[11:12]
	v_ashrrev_i32_e32 v14, 31, v13
	v_mov_b32_e32 v16, s13
	v_lshlrev_b64 v[13:14], 2, v[13:14]
	v_add_co_u32_e32 v11, vcc, s12, v11
	v_addc_co_u32_e32 v12, vcc, v16, v12, vcc
	v_mov_b32_e32 v17, s13
	v_add_co_u32_e32 v13, vcc, s12, v13
	v_addc_co_u32_e32 v14, vcc, v17, v14, vcc
	global_load_dword v15, v[11:12], off
	global_load_dword v16, v[13:14], off
	s_andn2_b64 s[10:11], s[10:11], exec
	s_add_i32 s21, s21, -1
	v_add_u32_e32 v10, -1, v10
	v_add_u32_e32 v9, -1, v9
	v_add_u32_e32 v8, 1, v8
	v_add_u32_e32 v7, 1, v7
	s_waitcnt vmcnt(1)
	v_cmp_gt_f32_e32 vcc, v6, v15
	s_waitcnt vmcnt(0)
	v_cmp_ge_f32_e64 s[4:5], v6, v16
	s_and_b64 s[4:5], vcc, s[4:5]
	s_and_b64 s[16:17], s[16:17], s[4:5]
	s_and_b64 s[4:5], s[16:17], exec
	s_or_b64 s[10:11], s[10:11], s[4:5]
	s_cmp_eq_u32 s21, 0
	s_cbranch_scc0 .LBB2_5
	s_branch .LBB2_2
.LBB2_6:
	s_endpgm
	.section	.rodata,"a",@progbits
	.p2align	6, 0x0
	.amdhsa_kernel _Z13relextrema_1DIfEviibPKT_Pb
		.amdhsa_group_segment_fixed_size 0
		.amdhsa_private_segment_fixed_size 0
		.amdhsa_kernarg_size 288
		.amdhsa_user_sgpr_count 6
		.amdhsa_user_sgpr_private_segment_buffer 1
		.amdhsa_user_sgpr_dispatch_ptr 0
		.amdhsa_user_sgpr_queue_ptr 0
		.amdhsa_user_sgpr_kernarg_segment_ptr 1
		.amdhsa_user_sgpr_dispatch_id 0
		.amdhsa_user_sgpr_flat_scratch_init 0
		.amdhsa_user_sgpr_private_segment_size 0
		.amdhsa_uses_dynamic_stack 0
		.amdhsa_system_sgpr_private_segment_wavefront_offset 0
		.amdhsa_system_sgpr_workgroup_id_x 1
		.amdhsa_system_sgpr_workgroup_id_y 0
		.amdhsa_system_sgpr_workgroup_id_z 0
		.amdhsa_system_sgpr_workgroup_info 0
		.amdhsa_system_vgpr_workitem_id 0
		.amdhsa_next_free_vgpr 18
		.amdhsa_next_free_sgpr 22
		.amdhsa_reserve_vcc 1
		.amdhsa_reserve_flat_scratch 0
		.amdhsa_float_round_mode_32 0
		.amdhsa_float_round_mode_16_64 0
		.amdhsa_float_denorm_mode_32 3
		.amdhsa_float_denorm_mode_16_64 3
		.amdhsa_dx10_clamp 1
		.amdhsa_ieee_mode 1
		.amdhsa_fp16_overflow 0
		.amdhsa_exception_fp_ieee_invalid_op 0
		.amdhsa_exception_fp_denorm_src 0
		.amdhsa_exception_fp_ieee_div_zero 0
		.amdhsa_exception_fp_ieee_overflow 0
		.amdhsa_exception_fp_ieee_underflow 0
		.amdhsa_exception_fp_ieee_inexact 0
		.amdhsa_exception_int_div_zero 0
	.end_amdhsa_kernel
	.section	.text._Z13relextrema_1DIfEviibPKT_Pb,"axG",@progbits,_Z13relextrema_1DIfEviibPKT_Pb,comdat
.Lfunc_end2:
	.size	_Z13relextrema_1DIfEviibPKT_Pb, .Lfunc_end2-_Z13relextrema_1DIfEviibPKT_Pb
                                        ; -- End function
	.set _Z13relextrema_1DIfEviibPKT_Pb.num_vgpr, 18
	.set _Z13relextrema_1DIfEviibPKT_Pb.num_agpr, 0
	.set _Z13relextrema_1DIfEviibPKT_Pb.numbered_sgpr, 22
	.set _Z13relextrema_1DIfEviibPKT_Pb.num_named_barrier, 0
	.set _Z13relextrema_1DIfEviibPKT_Pb.private_seg_size, 0
	.set _Z13relextrema_1DIfEviibPKT_Pb.uses_vcc, 1
	.set _Z13relextrema_1DIfEviibPKT_Pb.uses_flat_scratch, 0
	.set _Z13relextrema_1DIfEviibPKT_Pb.has_dyn_sized_stack, 0
	.set _Z13relextrema_1DIfEviibPKT_Pb.has_recursion, 0
	.set _Z13relextrema_1DIfEviibPKT_Pb.has_indirect_call, 0
	.section	.AMDGPU.csdata,"",@progbits
; Kernel info:
; codeLenInByte = 472
; TotalNumSgprs: 26
; NumVgprs: 18
; ScratchSize: 0
; MemoryBound: 0
; FloatMode: 240
; IeeeMode: 1
; LDSByteSize: 0 bytes/workgroup (compile time only)
; SGPRBlocks: 3
; VGPRBlocks: 4
; NumSGPRsForWavesPerEU: 26
; NumVGPRsForWavesPerEU: 18
; Occupancy: 10
; WaveLimiterHint : 0
; COMPUTE_PGM_RSRC2:SCRATCH_EN: 0
; COMPUTE_PGM_RSRC2:USER_SGPR: 6
; COMPUTE_PGM_RSRC2:TRAP_HANDLER: 0
; COMPUTE_PGM_RSRC2:TGID_X_EN: 1
; COMPUTE_PGM_RSRC2:TGID_Y_EN: 0
; COMPUTE_PGM_RSRC2:TGID_Z_EN: 0
; COMPUTE_PGM_RSRC2:TIDIG_COMP_CNT: 0
	.section	.text._Z13relextrema_1DIdEviibPKT_Pb,"axG",@progbits,_Z13relextrema_1DIdEviibPKT_Pb,comdat
	.protected	_Z13relextrema_1DIdEviibPKT_Pb ; -- Begin function _Z13relextrema_1DIdEviibPKT_Pb
	.globl	_Z13relextrema_1DIdEviibPKT_Pb
	.p2align	8
	.type	_Z13relextrema_1DIdEviibPKT_Pb,@function
_Z13relextrema_1DIdEviibPKT_Pb:         ; @_Z13relextrema_1DIdEviibPKT_Pb
; %bb.0:
	s_load_dword s2, s[4:5], 0x2c
	s_load_dwordx4 s[8:11], s[4:5], 0x0
	s_add_u32 s0, s4, 32
	s_addc_u32 s1, s5, 0
	s_waitcnt lgkmcnt(0)
	s_and_b32 s2, s2, 0xffff
	s_mul_i32 s18, s6, s2
	v_add_u32_e32 v1, s18, v0
	v_cmp_gt_i32_e32 vcc, s8, v1
	s_and_saveexec_b64 s[6:7], vcc
	s_cbranch_execz .LBB3_6
; %bb.1:
	s_load_dword s19, s[0:1], 0x0
	s_load_dwordx4 s[12:15], s[4:5], 0x10
	s_bitcmp1_b32 s10, 0
	s_cselect_b64 s[0:1], -1, 0
	s_cmp_gt_i32 s9, 0
	s_waitcnt lgkmcnt(0)
	s_mul_i32 s19, s19, s2
	s_cselect_b64 s[2:3], -1, 0
	v_add_u32_e32 v5, -1, v0
	v_add_u32_e32 v0, 1, v0
	v_cndmask_b32_e64 v2, 0, 1, s[2:3]
	s_add_i32 s20, s8, -1
	v_add_u32_e32 v6, s8, v5
	v_subrev_u32_e32 v7, s8, v0
	s_mov_b64 s[6:7], 0
	v_cmp_ne_u32_e64 s[2:3], 1, v2
	s_branch .LBB3_3
.LBB3_2:                                ;   in Loop: Header=BB3_3 Depth=1
	v_mov_b32_e32 v4, s15
	v_add_co_u32_e32 v3, vcc, s14, v1
	v_addc_co_u32_e32 v4, vcc, v4, v2, vcc
	v_add_u32_e32 v1, s19, v1
	v_cmp_le_i32_e32 vcc, s8, v1
	v_cndmask_b32_e64 v2, 0, 1, s[10:11]
	v_add_u32_e32 v5, s19, v5
	v_add_u32_e32 v6, s19, v6
	;; [unrolled: 1-line block ×3, first 2 shown]
	s_or_b64 s[6:7], vcc, s[6:7]
	v_add_u32_e32 v7, s19, v7
	global_store_byte v[3:4], v2, off
	s_andn2_b64 exec, exec, s[6:7]
	s_cbranch_execz .LBB3_6
.LBB3_3:                                ; =>This Loop Header: Depth=1
                                        ;     Child Loop BB3_5 Depth 2
	v_ashrrev_i32_e32 v2, 31, v1
	s_and_b64 vcc, exec, s[2:3]
	s_mov_b64 s[10:11], -1
	s_cbranch_vccnz .LBB3_2
; %bb.4:                                ;   in Loop: Header=BB3_3 Depth=1
	v_lshlrev_b64 v[3:4], 3, v[1:2]
	v_mov_b32_e32 v8, s13
	v_add_co_u32_e32 v3, vcc, s12, v3
	v_addc_co_u32_e32 v4, vcc, v8, v4, vcc
	global_load_dwordx2 v[3:4], v[3:4], off
	s_mov_b64 s[16:17], -1
	v_mov_b32_e32 v8, v7
	v_mov_b32_e32 v9, v0
	;; [unrolled: 1-line block ×4, first 2 shown]
	s_mov_b32 s21, s9
                                        ; implicit-def: $sgpr10_sgpr11
.LBB3_5:                                ;   Parent Loop BB3_3 Depth=1
                                        ; =>  This Inner Loop Header: Depth=2
	v_add_u32_e32 v12, s18, v9
	v_add_u32_e32 v14, s18, v8
	v_mov_b32_e32 v15, s20
	v_add_u32_e32 v13, s18, v11
	v_add_u32_e32 v16, s18, v10
	v_cndmask_b32_e64 v14, v14, v15, s[0:1]
	v_cmp_gt_i32_e64 s[4:5], s8, v12
	v_cndmask_b32_e64 v15, v16, 0, s[0:1]
	v_cmp_gt_i32_e32 vcc, 0, v13
	v_cndmask_b32_e64 v12, v14, v12, s[4:5]
	v_cndmask_b32_e32 v14, v13, v15, vcc
	v_ashrrev_i32_e32 v13, 31, v12
	v_lshlrev_b64 v[12:13], 3, v[12:13]
	v_ashrrev_i32_e32 v15, 31, v14
	v_mov_b32_e32 v17, s13
	v_lshlrev_b64 v[14:15], 3, v[14:15]
	v_add_co_u32_e32 v12, vcc, s12, v12
	v_addc_co_u32_e32 v13, vcc, v17, v13, vcc
	v_mov_b32_e32 v18, s13
	v_add_co_u32_e32 v14, vcc, s12, v14
	v_addc_co_u32_e32 v15, vcc, v18, v15, vcc
	global_load_dwordx2 v[16:17], v[12:13], off
	global_load_dwordx2 v[18:19], v[14:15], off
	s_andn2_b64 s[10:11], s[10:11], exec
	s_add_i32 s21, s21, -1
	v_add_u32_e32 v11, -1, v11
	v_add_u32_e32 v10, -1, v10
	v_add_u32_e32 v9, 1, v9
	v_add_u32_e32 v8, 1, v8
	s_waitcnt vmcnt(1)
	v_cmp_gt_f64_e32 vcc, v[3:4], v[16:17]
	s_waitcnt vmcnt(0)
	v_cmp_ge_f64_e64 s[4:5], v[3:4], v[18:19]
	s_and_b64 s[4:5], vcc, s[4:5]
	s_and_b64 s[16:17], s[16:17], s[4:5]
	s_and_b64 s[4:5], s[16:17], exec
	s_or_b64 s[10:11], s[10:11], s[4:5]
	s_cmp_eq_u32 s21, 0
	s_cbranch_scc0 .LBB3_5
	s_branch .LBB3_2
.LBB3_6:
	s_endpgm
	.section	.rodata,"a",@progbits
	.p2align	6, 0x0
	.amdhsa_kernel _Z13relextrema_1DIdEviibPKT_Pb
		.amdhsa_group_segment_fixed_size 0
		.amdhsa_private_segment_fixed_size 0
		.amdhsa_kernarg_size 288
		.amdhsa_user_sgpr_count 6
		.amdhsa_user_sgpr_private_segment_buffer 1
		.amdhsa_user_sgpr_dispatch_ptr 0
		.amdhsa_user_sgpr_queue_ptr 0
		.amdhsa_user_sgpr_kernarg_segment_ptr 1
		.amdhsa_user_sgpr_dispatch_id 0
		.amdhsa_user_sgpr_flat_scratch_init 0
		.amdhsa_user_sgpr_private_segment_size 0
		.amdhsa_uses_dynamic_stack 0
		.amdhsa_system_sgpr_private_segment_wavefront_offset 0
		.amdhsa_system_sgpr_workgroup_id_x 1
		.amdhsa_system_sgpr_workgroup_id_y 0
		.amdhsa_system_sgpr_workgroup_id_z 0
		.amdhsa_system_sgpr_workgroup_info 0
		.amdhsa_system_vgpr_workitem_id 0
		.amdhsa_next_free_vgpr 20
		.amdhsa_next_free_sgpr 22
		.amdhsa_reserve_vcc 1
		.amdhsa_reserve_flat_scratch 0
		.amdhsa_float_round_mode_32 0
		.amdhsa_float_round_mode_16_64 0
		.amdhsa_float_denorm_mode_32 3
		.amdhsa_float_denorm_mode_16_64 3
		.amdhsa_dx10_clamp 1
		.amdhsa_ieee_mode 1
		.amdhsa_fp16_overflow 0
		.amdhsa_exception_fp_ieee_invalid_op 0
		.amdhsa_exception_fp_denorm_src 0
		.amdhsa_exception_fp_ieee_div_zero 0
		.amdhsa_exception_fp_ieee_overflow 0
		.amdhsa_exception_fp_ieee_underflow 0
		.amdhsa_exception_fp_ieee_inexact 0
		.amdhsa_exception_int_div_zero 0
	.end_amdhsa_kernel
	.section	.text._Z13relextrema_1DIdEviibPKT_Pb,"axG",@progbits,_Z13relextrema_1DIdEviibPKT_Pb,comdat
.Lfunc_end3:
	.size	_Z13relextrema_1DIdEviibPKT_Pb, .Lfunc_end3-_Z13relextrema_1DIdEviibPKT_Pb
                                        ; -- End function
	.set _Z13relextrema_1DIdEviibPKT_Pb.num_vgpr, 20
	.set _Z13relextrema_1DIdEviibPKT_Pb.num_agpr, 0
	.set _Z13relextrema_1DIdEviibPKT_Pb.numbered_sgpr, 22
	.set _Z13relextrema_1DIdEviibPKT_Pb.num_named_barrier, 0
	.set _Z13relextrema_1DIdEviibPKT_Pb.private_seg_size, 0
	.set _Z13relextrema_1DIdEviibPKT_Pb.uses_vcc, 1
	.set _Z13relextrema_1DIdEviibPKT_Pb.uses_flat_scratch, 0
	.set _Z13relextrema_1DIdEviibPKT_Pb.has_dyn_sized_stack, 0
	.set _Z13relextrema_1DIdEviibPKT_Pb.has_recursion, 0
	.set _Z13relextrema_1DIdEviibPKT_Pb.has_indirect_call, 0
	.section	.AMDGPU.csdata,"",@progbits
; Kernel info:
; codeLenInByte = 472
; TotalNumSgprs: 26
; NumVgprs: 20
; ScratchSize: 0
; MemoryBound: 0
; FloatMode: 240
; IeeeMode: 1
; LDSByteSize: 0 bytes/workgroup (compile time only)
; SGPRBlocks: 3
; VGPRBlocks: 4
; NumSGPRsForWavesPerEU: 26
; NumVGPRsForWavesPerEU: 20
; Occupancy: 10
; WaveLimiterHint : 0
; COMPUTE_PGM_RSRC2:SCRATCH_EN: 0
; COMPUTE_PGM_RSRC2:USER_SGPR: 6
; COMPUTE_PGM_RSRC2:TRAP_HANDLER: 0
; COMPUTE_PGM_RSRC2:TGID_X_EN: 1
; COMPUTE_PGM_RSRC2:TGID_Y_EN: 0
; COMPUTE_PGM_RSRC2:TGID_Z_EN: 0
; COMPUTE_PGM_RSRC2:TIDIG_COMP_CNT: 0
	.section	.text._Z13relextrema_2DIiEviiibiPKT_Pb,"axG",@progbits,_Z13relextrema_2DIiEviiibiPKT_Pb,comdat
	.protected	_Z13relextrema_2DIiEviiibiPKT_Pb ; -- Begin function _Z13relextrema_2DIiEviiibiPKT_Pb
	.globl	_Z13relextrema_2DIiEviiibiPKT_Pb
	.p2align	8
	.type	_Z13relextrema_2DIiEviiibiPKT_Pb,@function
_Z13relextrema_2DIiEviiibiPKT_Pb:       ; @_Z13relextrema_2DIiEviiibiPKT_Pb
; %bb.0:
	s_load_dword s0, s[4:5], 0x34
	s_load_dwordx4 s[8:11], s[4:5], 0x0
	s_waitcnt lgkmcnt(0)
	s_lshr_b32 s1, s0, 16
	s_and_b32 s0, s0, 0xffff
	s_mul_i32 s6, s6, s0
	s_mul_i32 s7, s7, s1
	v_add_u32_e32 v0, s6, v0
	v_add_u32_e32 v7, s7, v1
	v_cmp_gt_i32_e32 vcc, s9, v7
	v_cmp_gt_i32_e64 s[0:1], s8, v0
	s_and_b64 s[0:1], vcc, s[0:1]
	s_and_saveexec_b64 s[2:3], s[0:1]
	s_cbranch_execz .LBB4_9
; %bb.1:
	v_mul_lo_u32 v8, v7, s8
	s_load_dword s2, s[4:5], 0x10
	s_load_dwordx2 s[6:7], s[4:5], 0x20
	s_mov_b64 s[12:13], -1
	s_cmp_lt_i32 s10, 1
	v_add_u32_e32 v1, v8, v0
	v_ashrrev_i32_e32 v2, 31, v1
	s_mov_b32 s16, 1
	s_cbranch_scc1 .LBB4_8
; %bb.2:
	s_load_dwordx2 s[4:5], s[4:5], 0x18
	v_lshlrev_b64 v[3:4], 2, v[1:2]
	s_bitcmp1_b32 s11, 0
	s_cselect_b64 s[0:1], -1, 0
	s_waitcnt lgkmcnt(0)
	s_cmp_lg_u32 s2, 0
	v_mov_b32_e32 v9, s5
	v_add_co_u32_e32 v3, vcc, s4, v3
	v_addc_co_u32_e32 v4, vcc, v9, v4, vcc
	global_load_dword v10, v[3:4], off
	s_cselect_b64 s[14:15], -1, 0
	s_add_i32 s5, s8, -1
	s_add_i32 s11, s9, -1
	s_branch .LBB4_4
.LBB4_3:                                ;   in Loop: Header=BB4_4 Depth=1
	v_ashrrev_i32_e32 v6, 31, v5
	v_lshlrev_b64 v[4:5], 2, v[5:6]
	v_add_co_u32_e32 v11, vcc, s4, v4
	v_ashrrev_i32_e32 v4, 31, v3
	v_lshlrev_b64 v[3:4], 2, v[3:4]
	v_addc_co_u32_e32 v12, vcc, v9, v5, vcc
	v_add_co_u32_e32 v3, vcc, s4, v3
	v_addc_co_u32_e32 v4, vcc, v9, v4, vcc
	global_load_dword v5, v[11:12], off
	global_load_dword v6, v[3:4], off
	s_waitcnt vmcnt(1)
	v_cmp_gt_i32_e32 vcc, v10, v5
	s_waitcnt vmcnt(0)
	v_cmp_ge_i32_e64 s[2:3], v10, v6
	s_and_b64 s[2:3], vcc, s[2:3]
	s_and_b64 s[12:13], s[12:13], s[2:3]
	s_add_i32 s2, s16, 1
	s_cmp_eq_u32 s16, s10
	s_mov_b32 s16, s2
	s_cbranch_scc1 .LBB4_8
.LBB4_4:                                ; =>This Inner Loop Header: Depth=1
	s_and_b64 vcc, exec, s[14:15]
	s_mov_b64 s[2:3], -1
                                        ; implicit-def: $vgpr3
                                        ; implicit-def: $vgpr5
	s_cbranch_vccz .LBB4_6
; %bb.5:                                ;   in Loop: Header=BB4_4 Depth=1
	v_add_u32_e32 v3, s16, v0
	v_subrev_u32_e32 v5, s8, v3
	v_mov_b32_e32 v6, s5
	v_subrev_u32_e32 v4, s16, v0
	v_cndmask_b32_e64 v5, v5, v6, s[0:1]
	v_cmp_gt_i32_e32 vcc, s8, v3
	v_cndmask_b32_e32 v3, v5, v3, vcc
	v_add_u32_e32 v5, s8, v4
	v_cndmask_b32_e64 v5, v5, 0, s[0:1]
	v_cmp_gt_i32_e32 vcc, 0, v4
	v_cndmask_b32_e32 v4, v4, v5, vcc
	v_add_u32_e32 v5, v3, v8
	v_add_u32_e32 v3, v4, v8
	s_mov_b64 s[2:3], 0
.LBB4_6:                                ;   in Loop: Header=BB4_4 Depth=1
	s_andn2_b64 vcc, exec, s[2:3]
	s_cbranch_vccnz .LBB4_3
; %bb.7:                                ;   in Loop: Header=BB4_4 Depth=1
	v_add_u32_e32 v3, s16, v7
	v_subrev_u32_e32 v5, s9, v3
	v_mov_b32_e32 v6, s11
	v_subrev_u32_e32 v4, s16, v7
	v_cndmask_b32_e64 v5, v5, v6, s[0:1]
	v_cmp_gt_i32_e32 vcc, s9, v3
	v_cndmask_b32_e32 v3, v5, v3, vcc
	v_add_u32_e32 v5, s9, v4
	v_cndmask_b32_e64 v5, v5, 0, s[0:1]
	v_cmp_gt_i32_e32 vcc, 0, v4
	v_cndmask_b32_e32 v4, v4, v5, vcc
	v_mad_u64_u32 v[5:6], s[2:3], v3, s8, v[0:1]
	v_mad_u64_u32 v[3:4], s[2:3], v4, s8, v[0:1]
	s_branch .LBB4_3
.LBB4_8:
	s_waitcnt lgkmcnt(0)
	v_mov_b32_e32 v3, s7
	v_add_co_u32_e32 v0, vcc, s6, v1
	v_addc_co_u32_e32 v1, vcc, v3, v2, vcc
	v_cndmask_b32_e64 v2, 0, 1, s[12:13]
	global_store_byte v[0:1], v2, off
.LBB4_9:
	s_endpgm
	.section	.rodata,"a",@progbits
	.p2align	6, 0x0
	.amdhsa_kernel _Z13relextrema_2DIiEviiibiPKT_Pb
		.amdhsa_group_segment_fixed_size 0
		.amdhsa_private_segment_fixed_size 0
		.amdhsa_kernarg_size 296
		.amdhsa_user_sgpr_count 6
		.amdhsa_user_sgpr_private_segment_buffer 1
		.amdhsa_user_sgpr_dispatch_ptr 0
		.amdhsa_user_sgpr_queue_ptr 0
		.amdhsa_user_sgpr_kernarg_segment_ptr 1
		.amdhsa_user_sgpr_dispatch_id 0
		.amdhsa_user_sgpr_flat_scratch_init 0
		.amdhsa_user_sgpr_private_segment_size 0
		.amdhsa_uses_dynamic_stack 0
		.amdhsa_system_sgpr_private_segment_wavefront_offset 0
		.amdhsa_system_sgpr_workgroup_id_x 1
		.amdhsa_system_sgpr_workgroup_id_y 1
		.amdhsa_system_sgpr_workgroup_id_z 0
		.amdhsa_system_sgpr_workgroup_info 0
		.amdhsa_system_vgpr_workitem_id 1
		.amdhsa_next_free_vgpr 13
		.amdhsa_next_free_sgpr 17
		.amdhsa_reserve_vcc 1
		.amdhsa_reserve_flat_scratch 0
		.amdhsa_float_round_mode_32 0
		.amdhsa_float_round_mode_16_64 0
		.amdhsa_float_denorm_mode_32 3
		.amdhsa_float_denorm_mode_16_64 3
		.amdhsa_dx10_clamp 1
		.amdhsa_ieee_mode 1
		.amdhsa_fp16_overflow 0
		.amdhsa_exception_fp_ieee_invalid_op 0
		.amdhsa_exception_fp_denorm_src 0
		.amdhsa_exception_fp_ieee_div_zero 0
		.amdhsa_exception_fp_ieee_overflow 0
		.amdhsa_exception_fp_ieee_underflow 0
		.amdhsa_exception_fp_ieee_inexact 0
		.amdhsa_exception_int_div_zero 0
	.end_amdhsa_kernel
	.section	.text._Z13relextrema_2DIiEviiibiPKT_Pb,"axG",@progbits,_Z13relextrema_2DIiEviiibiPKT_Pb,comdat
.Lfunc_end4:
	.size	_Z13relextrema_2DIiEviiibiPKT_Pb, .Lfunc_end4-_Z13relextrema_2DIiEviiibiPKT_Pb
                                        ; -- End function
	.set _Z13relextrema_2DIiEviiibiPKT_Pb.num_vgpr, 13
	.set _Z13relextrema_2DIiEviiibiPKT_Pb.num_agpr, 0
	.set _Z13relextrema_2DIiEviiibiPKT_Pb.numbered_sgpr, 17
	.set _Z13relextrema_2DIiEviiibiPKT_Pb.num_named_barrier, 0
	.set _Z13relextrema_2DIiEviiibiPKT_Pb.private_seg_size, 0
	.set _Z13relextrema_2DIiEviiibiPKT_Pb.uses_vcc, 1
	.set _Z13relextrema_2DIiEviiibiPKT_Pb.uses_flat_scratch, 0
	.set _Z13relextrema_2DIiEviiibiPKT_Pb.has_dyn_sized_stack, 0
	.set _Z13relextrema_2DIiEviiibiPKT_Pb.has_recursion, 0
	.set _Z13relextrema_2DIiEviiibiPKT_Pb.has_indirect_call, 0
	.section	.AMDGPU.csdata,"",@progbits
; Kernel info:
; codeLenInByte = 480
; TotalNumSgprs: 21
; NumVgprs: 13
; ScratchSize: 0
; MemoryBound: 0
; FloatMode: 240
; IeeeMode: 1
; LDSByteSize: 0 bytes/workgroup (compile time only)
; SGPRBlocks: 2
; VGPRBlocks: 3
; NumSGPRsForWavesPerEU: 21
; NumVGPRsForWavesPerEU: 13
; Occupancy: 10
; WaveLimiterHint : 0
; COMPUTE_PGM_RSRC2:SCRATCH_EN: 0
; COMPUTE_PGM_RSRC2:USER_SGPR: 6
; COMPUTE_PGM_RSRC2:TRAP_HANDLER: 0
; COMPUTE_PGM_RSRC2:TGID_X_EN: 1
; COMPUTE_PGM_RSRC2:TGID_Y_EN: 1
; COMPUTE_PGM_RSRC2:TGID_Z_EN: 0
; COMPUTE_PGM_RSRC2:TIDIG_COMP_CNT: 1
	.section	.text._Z13relextrema_2DIlEviiibiPKT_Pb,"axG",@progbits,_Z13relextrema_2DIlEviiibiPKT_Pb,comdat
	.protected	_Z13relextrema_2DIlEviiibiPKT_Pb ; -- Begin function _Z13relextrema_2DIlEviiibiPKT_Pb
	.globl	_Z13relextrema_2DIlEviiibiPKT_Pb
	.p2align	8
	.type	_Z13relextrema_2DIlEviiibiPKT_Pb,@function
_Z13relextrema_2DIlEviiibiPKT_Pb:       ; @_Z13relextrema_2DIlEviiibiPKT_Pb
; %bb.0:
	s_load_dword s0, s[4:5], 0x34
	s_load_dwordx4 s[8:11], s[4:5], 0x0
	s_waitcnt lgkmcnt(0)
	s_lshr_b32 s1, s0, 16
	s_and_b32 s0, s0, 0xffff
	s_mul_i32 s6, s6, s0
	s_mul_i32 s7, s7, s1
	v_add_u32_e32 v0, s6, v0
	v_add_u32_e32 v9, s7, v1
	v_cmp_gt_i32_e32 vcc, s9, v9
	v_cmp_gt_i32_e64 s[0:1], s8, v0
	s_and_b64 s[0:1], vcc, s[0:1]
	s_and_saveexec_b64 s[2:3], s[0:1]
	s_cbranch_execz .LBB5_9
; %bb.1:
	v_mul_lo_u32 v10, v9, s8
	s_load_dword s2, s[4:5], 0x10
	s_load_dwordx2 s[6:7], s[4:5], 0x20
	s_mov_b64 s[12:13], -1
	s_cmp_lt_i32 s10, 1
	v_add_u32_e32 v1, v10, v0
	v_ashrrev_i32_e32 v2, 31, v1
	s_mov_b32 s16, 1
	s_cbranch_scc1 .LBB5_8
; %bb.2:
	s_load_dwordx2 s[4:5], s[4:5], 0x18
	v_lshlrev_b64 v[3:4], 3, v[1:2]
	s_bitcmp1_b32 s11, 0
	s_cselect_b64 s[0:1], -1, 0
	s_waitcnt lgkmcnt(0)
	s_cmp_lg_u32 s2, 0
	v_mov_b32_e32 v11, s5
	v_add_co_u32_e32 v3, vcc, s4, v3
	v_addc_co_u32_e32 v4, vcc, v11, v4, vcc
	global_load_dwordx2 v[3:4], v[3:4], off
	s_cselect_b64 s[14:15], -1, 0
	s_add_i32 s5, s8, -1
	s_add_i32 s11, s9, -1
	s_branch .LBB5_4
.LBB5_3:                                ;   in Loop: Header=BB5_4 Depth=1
	v_ashrrev_i32_e32 v8, 31, v7
	v_lshlrev_b64 v[6:7], 3, v[7:8]
	v_add_co_u32_e32 v12, vcc, s4, v6
	v_ashrrev_i32_e32 v6, 31, v5
	v_lshlrev_b64 v[5:6], 3, v[5:6]
	v_addc_co_u32_e32 v13, vcc, v11, v7, vcc
	v_add_co_u32_e32 v5, vcc, s4, v5
	v_addc_co_u32_e32 v6, vcc, v11, v6, vcc
	global_load_dwordx2 v[7:8], v[12:13], off
	global_load_dwordx2 v[14:15], v[5:6], off
	s_waitcnt vmcnt(1)
	v_cmp_gt_i64_e32 vcc, v[3:4], v[7:8]
	s_waitcnt vmcnt(0)
	v_cmp_ge_i64_e64 s[2:3], v[3:4], v[14:15]
	s_and_b64 s[2:3], vcc, s[2:3]
	s_and_b64 s[12:13], s[12:13], s[2:3]
	s_add_i32 s2, s16, 1
	s_cmp_eq_u32 s16, s10
	s_mov_b32 s16, s2
	s_cbranch_scc1 .LBB5_8
.LBB5_4:                                ; =>This Inner Loop Header: Depth=1
	s_and_b64 vcc, exec, s[14:15]
	s_mov_b64 s[2:3], -1
                                        ; implicit-def: $vgpr5
                                        ; implicit-def: $vgpr7
	s_cbranch_vccz .LBB5_6
; %bb.5:                                ;   in Loop: Header=BB5_4 Depth=1
	v_add_u32_e32 v5, s16, v0
	v_subrev_u32_e32 v7, s8, v5
	v_mov_b32_e32 v8, s5
	v_subrev_u32_e32 v6, s16, v0
	v_cndmask_b32_e64 v7, v7, v8, s[0:1]
	v_cmp_gt_i32_e32 vcc, s8, v5
	v_cndmask_b32_e32 v5, v7, v5, vcc
	v_add_u32_e32 v7, s8, v6
	v_cndmask_b32_e64 v7, v7, 0, s[0:1]
	v_cmp_gt_i32_e32 vcc, 0, v6
	v_cndmask_b32_e32 v6, v6, v7, vcc
	v_add_u32_e32 v7, v5, v10
	v_add_u32_e32 v5, v6, v10
	s_mov_b64 s[2:3], 0
.LBB5_6:                                ;   in Loop: Header=BB5_4 Depth=1
	s_andn2_b64 vcc, exec, s[2:3]
	s_cbranch_vccnz .LBB5_3
; %bb.7:                                ;   in Loop: Header=BB5_4 Depth=1
	v_add_u32_e32 v5, s16, v9
	v_subrev_u32_e32 v7, s9, v5
	v_mov_b32_e32 v8, s11
	v_subrev_u32_e32 v6, s16, v9
	v_cndmask_b32_e64 v7, v7, v8, s[0:1]
	v_cmp_gt_i32_e32 vcc, s9, v5
	v_cndmask_b32_e32 v5, v7, v5, vcc
	v_add_u32_e32 v7, s9, v6
	v_cndmask_b32_e64 v7, v7, 0, s[0:1]
	v_cmp_gt_i32_e32 vcc, 0, v6
	v_cndmask_b32_e32 v6, v6, v7, vcc
	v_mad_u64_u32 v[7:8], s[2:3], v5, s8, v[0:1]
	v_mad_u64_u32 v[5:6], s[2:3], v6, s8, v[0:1]
	s_branch .LBB5_3
.LBB5_8:
	s_waitcnt lgkmcnt(0)
	v_mov_b32_e32 v3, s7
	v_add_co_u32_e32 v0, vcc, s6, v1
	v_addc_co_u32_e32 v1, vcc, v3, v2, vcc
	v_cndmask_b32_e64 v2, 0, 1, s[12:13]
	global_store_byte v[0:1], v2, off
.LBB5_9:
	s_endpgm
	.section	.rodata,"a",@progbits
	.p2align	6, 0x0
	.amdhsa_kernel _Z13relextrema_2DIlEviiibiPKT_Pb
		.amdhsa_group_segment_fixed_size 0
		.amdhsa_private_segment_fixed_size 0
		.amdhsa_kernarg_size 296
		.amdhsa_user_sgpr_count 6
		.amdhsa_user_sgpr_private_segment_buffer 1
		.amdhsa_user_sgpr_dispatch_ptr 0
		.amdhsa_user_sgpr_queue_ptr 0
		.amdhsa_user_sgpr_kernarg_segment_ptr 1
		.amdhsa_user_sgpr_dispatch_id 0
		.amdhsa_user_sgpr_flat_scratch_init 0
		.amdhsa_user_sgpr_private_segment_size 0
		.amdhsa_uses_dynamic_stack 0
		.amdhsa_system_sgpr_private_segment_wavefront_offset 0
		.amdhsa_system_sgpr_workgroup_id_x 1
		.amdhsa_system_sgpr_workgroup_id_y 1
		.amdhsa_system_sgpr_workgroup_id_z 0
		.amdhsa_system_sgpr_workgroup_info 0
		.amdhsa_system_vgpr_workitem_id 1
		.amdhsa_next_free_vgpr 16
		.amdhsa_next_free_sgpr 17
		.amdhsa_reserve_vcc 1
		.amdhsa_reserve_flat_scratch 0
		.amdhsa_float_round_mode_32 0
		.amdhsa_float_round_mode_16_64 0
		.amdhsa_float_denorm_mode_32 3
		.amdhsa_float_denorm_mode_16_64 3
		.amdhsa_dx10_clamp 1
		.amdhsa_ieee_mode 1
		.amdhsa_fp16_overflow 0
		.amdhsa_exception_fp_ieee_invalid_op 0
		.amdhsa_exception_fp_denorm_src 0
		.amdhsa_exception_fp_ieee_div_zero 0
		.amdhsa_exception_fp_ieee_overflow 0
		.amdhsa_exception_fp_ieee_underflow 0
		.amdhsa_exception_fp_ieee_inexact 0
		.amdhsa_exception_int_div_zero 0
	.end_amdhsa_kernel
	.section	.text._Z13relextrema_2DIlEviiibiPKT_Pb,"axG",@progbits,_Z13relextrema_2DIlEviiibiPKT_Pb,comdat
.Lfunc_end5:
	.size	_Z13relextrema_2DIlEviiibiPKT_Pb, .Lfunc_end5-_Z13relextrema_2DIlEviiibiPKT_Pb
                                        ; -- End function
	.set _Z13relextrema_2DIlEviiibiPKT_Pb.num_vgpr, 16
	.set _Z13relextrema_2DIlEviiibiPKT_Pb.num_agpr, 0
	.set _Z13relextrema_2DIlEviiibiPKT_Pb.numbered_sgpr, 17
	.set _Z13relextrema_2DIlEviiibiPKT_Pb.num_named_barrier, 0
	.set _Z13relextrema_2DIlEviiibiPKT_Pb.private_seg_size, 0
	.set _Z13relextrema_2DIlEviiibiPKT_Pb.uses_vcc, 1
	.set _Z13relextrema_2DIlEviiibiPKT_Pb.uses_flat_scratch, 0
	.set _Z13relextrema_2DIlEviiibiPKT_Pb.has_dyn_sized_stack, 0
	.set _Z13relextrema_2DIlEviiibiPKT_Pb.has_recursion, 0
	.set _Z13relextrema_2DIlEviiibiPKT_Pb.has_indirect_call, 0
	.section	.AMDGPU.csdata,"",@progbits
; Kernel info:
; codeLenInByte = 480
; TotalNumSgprs: 21
; NumVgprs: 16
; ScratchSize: 0
; MemoryBound: 0
; FloatMode: 240
; IeeeMode: 1
; LDSByteSize: 0 bytes/workgroup (compile time only)
; SGPRBlocks: 2
; VGPRBlocks: 3
; NumSGPRsForWavesPerEU: 21
; NumVGPRsForWavesPerEU: 16
; Occupancy: 10
; WaveLimiterHint : 0
; COMPUTE_PGM_RSRC2:SCRATCH_EN: 0
; COMPUTE_PGM_RSRC2:USER_SGPR: 6
; COMPUTE_PGM_RSRC2:TRAP_HANDLER: 0
; COMPUTE_PGM_RSRC2:TGID_X_EN: 1
; COMPUTE_PGM_RSRC2:TGID_Y_EN: 1
; COMPUTE_PGM_RSRC2:TGID_Z_EN: 0
; COMPUTE_PGM_RSRC2:TIDIG_COMP_CNT: 1
	.section	.text._Z13relextrema_2DIfEviiibiPKT_Pb,"axG",@progbits,_Z13relextrema_2DIfEviiibiPKT_Pb,comdat
	.protected	_Z13relextrema_2DIfEviiibiPKT_Pb ; -- Begin function _Z13relextrema_2DIfEviiibiPKT_Pb
	.globl	_Z13relextrema_2DIfEviiibiPKT_Pb
	.p2align	8
	.type	_Z13relextrema_2DIfEviiibiPKT_Pb,@function
_Z13relextrema_2DIfEviiibiPKT_Pb:       ; @_Z13relextrema_2DIfEviiibiPKT_Pb
; %bb.0:
	s_load_dword s0, s[4:5], 0x34
	s_load_dwordx4 s[8:11], s[4:5], 0x0
	s_waitcnt lgkmcnt(0)
	s_lshr_b32 s1, s0, 16
	s_and_b32 s0, s0, 0xffff
	s_mul_i32 s6, s6, s0
	s_mul_i32 s7, s7, s1
	v_add_u32_e32 v0, s6, v0
	v_add_u32_e32 v7, s7, v1
	v_cmp_gt_i32_e32 vcc, s9, v7
	v_cmp_gt_i32_e64 s[0:1], s8, v0
	s_and_b64 s[0:1], vcc, s[0:1]
	s_and_saveexec_b64 s[2:3], s[0:1]
	s_cbranch_execz .LBB6_9
; %bb.1:
	v_mul_lo_u32 v8, v7, s8
	s_load_dword s2, s[4:5], 0x10
	s_load_dwordx2 s[6:7], s[4:5], 0x20
	s_mov_b64 s[12:13], -1
	s_cmp_lt_i32 s10, 1
	v_add_u32_e32 v1, v8, v0
	v_ashrrev_i32_e32 v2, 31, v1
	s_mov_b32 s16, 1
	s_cbranch_scc1 .LBB6_8
; %bb.2:
	s_load_dwordx2 s[4:5], s[4:5], 0x18
	v_lshlrev_b64 v[3:4], 2, v[1:2]
	s_bitcmp1_b32 s11, 0
	s_cselect_b64 s[0:1], -1, 0
	s_waitcnt lgkmcnt(0)
	s_cmp_lg_u32 s2, 0
	v_mov_b32_e32 v9, s5
	v_add_co_u32_e32 v3, vcc, s4, v3
	v_addc_co_u32_e32 v4, vcc, v9, v4, vcc
	global_load_dword v10, v[3:4], off
	s_cselect_b64 s[14:15], -1, 0
	s_add_i32 s5, s8, -1
	s_add_i32 s11, s9, -1
	s_branch .LBB6_4
.LBB6_3:                                ;   in Loop: Header=BB6_4 Depth=1
	v_ashrrev_i32_e32 v6, 31, v5
	v_lshlrev_b64 v[4:5], 2, v[5:6]
	v_add_co_u32_e32 v11, vcc, s4, v4
	v_ashrrev_i32_e32 v4, 31, v3
	v_lshlrev_b64 v[3:4], 2, v[3:4]
	v_addc_co_u32_e32 v12, vcc, v9, v5, vcc
	v_add_co_u32_e32 v3, vcc, s4, v3
	v_addc_co_u32_e32 v4, vcc, v9, v4, vcc
	global_load_dword v5, v[11:12], off
	global_load_dword v6, v[3:4], off
	s_waitcnt vmcnt(1)
	v_cmp_gt_f32_e32 vcc, v10, v5
	s_waitcnt vmcnt(0)
	v_cmp_ge_f32_e64 s[2:3], v10, v6
	s_and_b64 s[2:3], vcc, s[2:3]
	s_and_b64 s[12:13], s[12:13], s[2:3]
	s_add_i32 s2, s16, 1
	s_cmp_eq_u32 s16, s10
	s_mov_b32 s16, s2
	s_cbranch_scc1 .LBB6_8
.LBB6_4:                                ; =>This Inner Loop Header: Depth=1
	s_and_b64 vcc, exec, s[14:15]
	s_mov_b64 s[2:3], -1
                                        ; implicit-def: $vgpr3
                                        ; implicit-def: $vgpr5
	s_cbranch_vccz .LBB6_6
; %bb.5:                                ;   in Loop: Header=BB6_4 Depth=1
	v_add_u32_e32 v3, s16, v0
	v_subrev_u32_e32 v5, s8, v3
	v_mov_b32_e32 v6, s5
	v_subrev_u32_e32 v4, s16, v0
	v_cndmask_b32_e64 v5, v5, v6, s[0:1]
	v_cmp_gt_i32_e32 vcc, s8, v3
	v_cndmask_b32_e32 v3, v5, v3, vcc
	v_add_u32_e32 v5, s8, v4
	v_cndmask_b32_e64 v5, v5, 0, s[0:1]
	v_cmp_gt_i32_e32 vcc, 0, v4
	v_cndmask_b32_e32 v4, v4, v5, vcc
	v_add_u32_e32 v5, v3, v8
	v_add_u32_e32 v3, v4, v8
	s_mov_b64 s[2:3], 0
.LBB6_6:                                ;   in Loop: Header=BB6_4 Depth=1
	s_andn2_b64 vcc, exec, s[2:3]
	s_cbranch_vccnz .LBB6_3
; %bb.7:                                ;   in Loop: Header=BB6_4 Depth=1
	v_add_u32_e32 v3, s16, v7
	v_subrev_u32_e32 v5, s9, v3
	v_mov_b32_e32 v6, s11
	v_subrev_u32_e32 v4, s16, v7
	v_cndmask_b32_e64 v5, v5, v6, s[0:1]
	v_cmp_gt_i32_e32 vcc, s9, v3
	v_cndmask_b32_e32 v3, v5, v3, vcc
	v_add_u32_e32 v5, s9, v4
	v_cndmask_b32_e64 v5, v5, 0, s[0:1]
	v_cmp_gt_i32_e32 vcc, 0, v4
	v_cndmask_b32_e32 v4, v4, v5, vcc
	v_mad_u64_u32 v[5:6], s[2:3], v3, s8, v[0:1]
	v_mad_u64_u32 v[3:4], s[2:3], v4, s8, v[0:1]
	s_branch .LBB6_3
.LBB6_8:
	s_waitcnt lgkmcnt(0)
	v_mov_b32_e32 v3, s7
	v_add_co_u32_e32 v0, vcc, s6, v1
	v_addc_co_u32_e32 v1, vcc, v3, v2, vcc
	v_cndmask_b32_e64 v2, 0, 1, s[12:13]
	global_store_byte v[0:1], v2, off
.LBB6_9:
	s_endpgm
	.section	.rodata,"a",@progbits
	.p2align	6, 0x0
	.amdhsa_kernel _Z13relextrema_2DIfEviiibiPKT_Pb
		.amdhsa_group_segment_fixed_size 0
		.amdhsa_private_segment_fixed_size 0
		.amdhsa_kernarg_size 296
		.amdhsa_user_sgpr_count 6
		.amdhsa_user_sgpr_private_segment_buffer 1
		.amdhsa_user_sgpr_dispatch_ptr 0
		.amdhsa_user_sgpr_queue_ptr 0
		.amdhsa_user_sgpr_kernarg_segment_ptr 1
		.amdhsa_user_sgpr_dispatch_id 0
		.amdhsa_user_sgpr_flat_scratch_init 0
		.amdhsa_user_sgpr_private_segment_size 0
		.amdhsa_uses_dynamic_stack 0
		.amdhsa_system_sgpr_private_segment_wavefront_offset 0
		.amdhsa_system_sgpr_workgroup_id_x 1
		.amdhsa_system_sgpr_workgroup_id_y 1
		.amdhsa_system_sgpr_workgroup_id_z 0
		.amdhsa_system_sgpr_workgroup_info 0
		.amdhsa_system_vgpr_workitem_id 1
		.amdhsa_next_free_vgpr 13
		.amdhsa_next_free_sgpr 17
		.amdhsa_reserve_vcc 1
		.amdhsa_reserve_flat_scratch 0
		.amdhsa_float_round_mode_32 0
		.amdhsa_float_round_mode_16_64 0
		.amdhsa_float_denorm_mode_32 3
		.amdhsa_float_denorm_mode_16_64 3
		.amdhsa_dx10_clamp 1
		.amdhsa_ieee_mode 1
		.amdhsa_fp16_overflow 0
		.amdhsa_exception_fp_ieee_invalid_op 0
		.amdhsa_exception_fp_denorm_src 0
		.amdhsa_exception_fp_ieee_div_zero 0
		.amdhsa_exception_fp_ieee_overflow 0
		.amdhsa_exception_fp_ieee_underflow 0
		.amdhsa_exception_fp_ieee_inexact 0
		.amdhsa_exception_int_div_zero 0
	.end_amdhsa_kernel
	.section	.text._Z13relextrema_2DIfEviiibiPKT_Pb,"axG",@progbits,_Z13relextrema_2DIfEviiibiPKT_Pb,comdat
.Lfunc_end6:
	.size	_Z13relextrema_2DIfEviiibiPKT_Pb, .Lfunc_end6-_Z13relextrema_2DIfEviiibiPKT_Pb
                                        ; -- End function
	.set _Z13relextrema_2DIfEviiibiPKT_Pb.num_vgpr, 13
	.set _Z13relextrema_2DIfEviiibiPKT_Pb.num_agpr, 0
	.set _Z13relextrema_2DIfEviiibiPKT_Pb.numbered_sgpr, 17
	.set _Z13relextrema_2DIfEviiibiPKT_Pb.num_named_barrier, 0
	.set _Z13relextrema_2DIfEviiibiPKT_Pb.private_seg_size, 0
	.set _Z13relextrema_2DIfEviiibiPKT_Pb.uses_vcc, 1
	.set _Z13relextrema_2DIfEviiibiPKT_Pb.uses_flat_scratch, 0
	.set _Z13relextrema_2DIfEviiibiPKT_Pb.has_dyn_sized_stack, 0
	.set _Z13relextrema_2DIfEviiibiPKT_Pb.has_recursion, 0
	.set _Z13relextrema_2DIfEviiibiPKT_Pb.has_indirect_call, 0
	.section	.AMDGPU.csdata,"",@progbits
; Kernel info:
; codeLenInByte = 480
; TotalNumSgprs: 21
; NumVgprs: 13
; ScratchSize: 0
; MemoryBound: 0
; FloatMode: 240
; IeeeMode: 1
; LDSByteSize: 0 bytes/workgroup (compile time only)
; SGPRBlocks: 2
; VGPRBlocks: 3
; NumSGPRsForWavesPerEU: 21
; NumVGPRsForWavesPerEU: 13
; Occupancy: 10
; WaveLimiterHint : 0
; COMPUTE_PGM_RSRC2:SCRATCH_EN: 0
; COMPUTE_PGM_RSRC2:USER_SGPR: 6
; COMPUTE_PGM_RSRC2:TRAP_HANDLER: 0
; COMPUTE_PGM_RSRC2:TGID_X_EN: 1
; COMPUTE_PGM_RSRC2:TGID_Y_EN: 1
; COMPUTE_PGM_RSRC2:TGID_Z_EN: 0
; COMPUTE_PGM_RSRC2:TIDIG_COMP_CNT: 1
	.section	.text._Z13relextrema_2DIdEviiibiPKT_Pb,"axG",@progbits,_Z13relextrema_2DIdEviiibiPKT_Pb,comdat
	.protected	_Z13relextrema_2DIdEviiibiPKT_Pb ; -- Begin function _Z13relextrema_2DIdEviiibiPKT_Pb
	.globl	_Z13relextrema_2DIdEviiibiPKT_Pb
	.p2align	8
	.type	_Z13relextrema_2DIdEviiibiPKT_Pb,@function
_Z13relextrema_2DIdEviiibiPKT_Pb:       ; @_Z13relextrema_2DIdEviiibiPKT_Pb
; %bb.0:
	s_load_dword s0, s[4:5], 0x34
	s_load_dwordx4 s[8:11], s[4:5], 0x0
	s_waitcnt lgkmcnt(0)
	s_lshr_b32 s1, s0, 16
	s_and_b32 s0, s0, 0xffff
	s_mul_i32 s6, s6, s0
	s_mul_i32 s7, s7, s1
	v_add_u32_e32 v0, s6, v0
	v_add_u32_e32 v9, s7, v1
	v_cmp_gt_i32_e32 vcc, s9, v9
	v_cmp_gt_i32_e64 s[0:1], s8, v0
	s_and_b64 s[0:1], vcc, s[0:1]
	s_and_saveexec_b64 s[2:3], s[0:1]
	s_cbranch_execz .LBB7_9
; %bb.1:
	v_mul_lo_u32 v10, v9, s8
	s_load_dword s2, s[4:5], 0x10
	s_load_dwordx2 s[6:7], s[4:5], 0x20
	s_mov_b64 s[12:13], -1
	s_cmp_lt_i32 s10, 1
	v_add_u32_e32 v1, v10, v0
	v_ashrrev_i32_e32 v2, 31, v1
	s_mov_b32 s16, 1
	s_cbranch_scc1 .LBB7_8
; %bb.2:
	s_load_dwordx2 s[4:5], s[4:5], 0x18
	v_lshlrev_b64 v[3:4], 3, v[1:2]
	s_bitcmp1_b32 s11, 0
	s_cselect_b64 s[0:1], -1, 0
	s_waitcnt lgkmcnt(0)
	s_cmp_lg_u32 s2, 0
	v_mov_b32_e32 v11, s5
	v_add_co_u32_e32 v3, vcc, s4, v3
	v_addc_co_u32_e32 v4, vcc, v11, v4, vcc
	global_load_dwordx2 v[3:4], v[3:4], off
	s_cselect_b64 s[14:15], -1, 0
	s_add_i32 s5, s8, -1
	s_add_i32 s11, s9, -1
	s_branch .LBB7_4
.LBB7_3:                                ;   in Loop: Header=BB7_4 Depth=1
	v_ashrrev_i32_e32 v8, 31, v7
	v_lshlrev_b64 v[6:7], 3, v[7:8]
	v_add_co_u32_e32 v12, vcc, s4, v6
	v_ashrrev_i32_e32 v6, 31, v5
	v_lshlrev_b64 v[5:6], 3, v[5:6]
	v_addc_co_u32_e32 v13, vcc, v11, v7, vcc
	v_add_co_u32_e32 v5, vcc, s4, v5
	v_addc_co_u32_e32 v6, vcc, v11, v6, vcc
	global_load_dwordx2 v[7:8], v[12:13], off
	global_load_dwordx2 v[14:15], v[5:6], off
	s_waitcnt vmcnt(1)
	v_cmp_gt_f64_e32 vcc, v[3:4], v[7:8]
	s_waitcnt vmcnt(0)
	v_cmp_ge_f64_e64 s[2:3], v[3:4], v[14:15]
	s_and_b64 s[2:3], vcc, s[2:3]
	s_and_b64 s[12:13], s[12:13], s[2:3]
	s_add_i32 s2, s16, 1
	s_cmp_eq_u32 s16, s10
	s_mov_b32 s16, s2
	s_cbranch_scc1 .LBB7_8
.LBB7_4:                                ; =>This Inner Loop Header: Depth=1
	s_and_b64 vcc, exec, s[14:15]
	s_mov_b64 s[2:3], -1
                                        ; implicit-def: $vgpr5
                                        ; implicit-def: $vgpr7
	s_cbranch_vccz .LBB7_6
; %bb.5:                                ;   in Loop: Header=BB7_4 Depth=1
	v_add_u32_e32 v5, s16, v0
	v_subrev_u32_e32 v7, s8, v5
	v_mov_b32_e32 v8, s5
	v_subrev_u32_e32 v6, s16, v0
	v_cndmask_b32_e64 v7, v7, v8, s[0:1]
	v_cmp_gt_i32_e32 vcc, s8, v5
	v_cndmask_b32_e32 v5, v7, v5, vcc
	v_add_u32_e32 v7, s8, v6
	v_cndmask_b32_e64 v7, v7, 0, s[0:1]
	v_cmp_gt_i32_e32 vcc, 0, v6
	v_cndmask_b32_e32 v6, v6, v7, vcc
	v_add_u32_e32 v7, v5, v10
	v_add_u32_e32 v5, v6, v10
	s_mov_b64 s[2:3], 0
.LBB7_6:                                ;   in Loop: Header=BB7_4 Depth=1
	s_andn2_b64 vcc, exec, s[2:3]
	s_cbranch_vccnz .LBB7_3
; %bb.7:                                ;   in Loop: Header=BB7_4 Depth=1
	v_add_u32_e32 v5, s16, v9
	v_subrev_u32_e32 v7, s9, v5
	v_mov_b32_e32 v8, s11
	v_subrev_u32_e32 v6, s16, v9
	v_cndmask_b32_e64 v7, v7, v8, s[0:1]
	v_cmp_gt_i32_e32 vcc, s9, v5
	v_cndmask_b32_e32 v5, v7, v5, vcc
	v_add_u32_e32 v7, s9, v6
	v_cndmask_b32_e64 v7, v7, 0, s[0:1]
	v_cmp_gt_i32_e32 vcc, 0, v6
	v_cndmask_b32_e32 v6, v6, v7, vcc
	v_mad_u64_u32 v[7:8], s[2:3], v5, s8, v[0:1]
	v_mad_u64_u32 v[5:6], s[2:3], v6, s8, v[0:1]
	s_branch .LBB7_3
.LBB7_8:
	s_waitcnt lgkmcnt(0)
	v_mov_b32_e32 v3, s7
	v_add_co_u32_e32 v0, vcc, s6, v1
	v_addc_co_u32_e32 v1, vcc, v3, v2, vcc
	v_cndmask_b32_e64 v2, 0, 1, s[12:13]
	global_store_byte v[0:1], v2, off
.LBB7_9:
	s_endpgm
	.section	.rodata,"a",@progbits
	.p2align	6, 0x0
	.amdhsa_kernel _Z13relextrema_2DIdEviiibiPKT_Pb
		.amdhsa_group_segment_fixed_size 0
		.amdhsa_private_segment_fixed_size 0
		.amdhsa_kernarg_size 296
		.amdhsa_user_sgpr_count 6
		.amdhsa_user_sgpr_private_segment_buffer 1
		.amdhsa_user_sgpr_dispatch_ptr 0
		.amdhsa_user_sgpr_queue_ptr 0
		.amdhsa_user_sgpr_kernarg_segment_ptr 1
		.amdhsa_user_sgpr_dispatch_id 0
		.amdhsa_user_sgpr_flat_scratch_init 0
		.amdhsa_user_sgpr_private_segment_size 0
		.amdhsa_uses_dynamic_stack 0
		.amdhsa_system_sgpr_private_segment_wavefront_offset 0
		.amdhsa_system_sgpr_workgroup_id_x 1
		.amdhsa_system_sgpr_workgroup_id_y 1
		.amdhsa_system_sgpr_workgroup_id_z 0
		.amdhsa_system_sgpr_workgroup_info 0
		.amdhsa_system_vgpr_workitem_id 1
		.amdhsa_next_free_vgpr 16
		.amdhsa_next_free_sgpr 17
		.amdhsa_reserve_vcc 1
		.amdhsa_reserve_flat_scratch 0
		.amdhsa_float_round_mode_32 0
		.amdhsa_float_round_mode_16_64 0
		.amdhsa_float_denorm_mode_32 3
		.amdhsa_float_denorm_mode_16_64 3
		.amdhsa_dx10_clamp 1
		.amdhsa_ieee_mode 1
		.amdhsa_fp16_overflow 0
		.amdhsa_exception_fp_ieee_invalid_op 0
		.amdhsa_exception_fp_denorm_src 0
		.amdhsa_exception_fp_ieee_div_zero 0
		.amdhsa_exception_fp_ieee_overflow 0
		.amdhsa_exception_fp_ieee_underflow 0
		.amdhsa_exception_fp_ieee_inexact 0
		.amdhsa_exception_int_div_zero 0
	.end_amdhsa_kernel
	.section	.text._Z13relextrema_2DIdEviiibiPKT_Pb,"axG",@progbits,_Z13relextrema_2DIdEviiibiPKT_Pb,comdat
.Lfunc_end7:
	.size	_Z13relextrema_2DIdEviiibiPKT_Pb, .Lfunc_end7-_Z13relextrema_2DIdEviiibiPKT_Pb
                                        ; -- End function
	.set _Z13relextrema_2DIdEviiibiPKT_Pb.num_vgpr, 16
	.set _Z13relextrema_2DIdEviiibiPKT_Pb.num_agpr, 0
	.set _Z13relextrema_2DIdEviiibiPKT_Pb.numbered_sgpr, 17
	.set _Z13relextrema_2DIdEviiibiPKT_Pb.num_named_barrier, 0
	.set _Z13relextrema_2DIdEviiibiPKT_Pb.private_seg_size, 0
	.set _Z13relextrema_2DIdEviiibiPKT_Pb.uses_vcc, 1
	.set _Z13relextrema_2DIdEviiibiPKT_Pb.uses_flat_scratch, 0
	.set _Z13relextrema_2DIdEviiibiPKT_Pb.has_dyn_sized_stack, 0
	.set _Z13relextrema_2DIdEviiibiPKT_Pb.has_recursion, 0
	.set _Z13relextrema_2DIdEviiibiPKT_Pb.has_indirect_call, 0
	.section	.AMDGPU.csdata,"",@progbits
; Kernel info:
; codeLenInByte = 480
; TotalNumSgprs: 21
; NumVgprs: 16
; ScratchSize: 0
; MemoryBound: 0
; FloatMode: 240
; IeeeMode: 1
; LDSByteSize: 0 bytes/workgroup (compile time only)
; SGPRBlocks: 2
; VGPRBlocks: 3
; NumSGPRsForWavesPerEU: 21
; NumVGPRsForWavesPerEU: 16
; Occupancy: 10
; WaveLimiterHint : 0
; COMPUTE_PGM_RSRC2:SCRATCH_EN: 0
; COMPUTE_PGM_RSRC2:USER_SGPR: 6
; COMPUTE_PGM_RSRC2:TRAP_HANDLER: 0
; COMPUTE_PGM_RSRC2:TGID_X_EN: 1
; COMPUTE_PGM_RSRC2:TGID_Y_EN: 1
; COMPUTE_PGM_RSRC2:TGID_Z_EN: 0
; COMPUTE_PGM_RSRC2:TIDIG_COMP_CNT: 1
	.section	.AMDGPU.gpr_maximums,"",@progbits
	.set amdgpu.max_num_vgpr, 0
	.set amdgpu.max_num_agpr, 0
	.set amdgpu.max_num_sgpr, 0
	.section	.AMDGPU.csdata,"",@progbits
	.type	__hip_cuid_5e65fa836c992c68,@object ; @__hip_cuid_5e65fa836c992c68
	.section	.bss,"aw",@nobits
	.globl	__hip_cuid_5e65fa836c992c68
__hip_cuid_5e65fa836c992c68:
	.byte	0                               ; 0x0
	.size	__hip_cuid_5e65fa836c992c68, 1

	.ident	"AMD clang version 22.0.0git (https://github.com/RadeonOpenCompute/llvm-project roc-7.2.4 26084 f58b06dce1f9c15707c5f808fd002e18c2accf7e)"
	.section	".note.GNU-stack","",@progbits
	.addrsig
	.addrsig_sym __hip_cuid_5e65fa836c992c68
	.amdgpu_metadata
---
amdhsa.kernels:
  - .args:
      - .offset:         0
        .size:           4
        .value_kind:     by_value
      - .offset:         4
        .size:           4
        .value_kind:     by_value
      - .offset:         8
        .size:           1
        .value_kind:     by_value
      - .actual_access:  read_only
        .address_space:  global
        .offset:         16
        .size:           8
        .value_kind:     global_buffer
      - .actual_access:  write_only
        .address_space:  global
        .offset:         24
        .size:           8
        .value_kind:     global_buffer
      - .offset:         32
        .size:           4
        .value_kind:     hidden_block_count_x
      - .offset:         36
        .size:           4
        .value_kind:     hidden_block_count_y
      - .offset:         40
        .size:           4
        .value_kind:     hidden_block_count_z
      - .offset:         44
        .size:           2
        .value_kind:     hidden_group_size_x
      - .offset:         46
        .size:           2
        .value_kind:     hidden_group_size_y
      - .offset:         48
        .size:           2
        .value_kind:     hidden_group_size_z
      - .offset:         50
        .size:           2
        .value_kind:     hidden_remainder_x
      - .offset:         52
        .size:           2
        .value_kind:     hidden_remainder_y
      - .offset:         54
        .size:           2
        .value_kind:     hidden_remainder_z
      - .offset:         72
        .size:           8
        .value_kind:     hidden_global_offset_x
      - .offset:         80
        .size:           8
        .value_kind:     hidden_global_offset_y
      - .offset:         88
        .size:           8
        .value_kind:     hidden_global_offset_z
      - .offset:         96
        .size:           2
        .value_kind:     hidden_grid_dims
    .group_segment_fixed_size: 0
    .kernarg_segment_align: 8
    .kernarg_segment_size: 288
    .language:       OpenCL C
    .language_version:
      - 2
      - 0
    .max_flat_workgroup_size: 1024
    .name:           _Z13relextrema_1DIiEviibPKT_Pb
    .private_segment_fixed_size: 0
    .sgpr_count:     26
    .sgpr_spill_count: 0
    .symbol:         _Z13relextrema_1DIiEviibPKT_Pb.kd
    .uniform_work_group_size: 1
    .uses_dynamic_stack: false
    .vgpr_count:     18
    .vgpr_spill_count: 0
    .wavefront_size: 64
  - .args:
      - .offset:         0
        .size:           4
        .value_kind:     by_value
      - .offset:         4
        .size:           4
        .value_kind:     by_value
      - .offset:         8
        .size:           1
        .value_kind:     by_value
      - .actual_access:  read_only
        .address_space:  global
        .offset:         16
        .size:           8
        .value_kind:     global_buffer
      - .actual_access:  write_only
        .address_space:  global
        .offset:         24
        .size:           8
        .value_kind:     global_buffer
      - .offset:         32
        .size:           4
        .value_kind:     hidden_block_count_x
      - .offset:         36
        .size:           4
        .value_kind:     hidden_block_count_y
      - .offset:         40
        .size:           4
        .value_kind:     hidden_block_count_z
      - .offset:         44
        .size:           2
        .value_kind:     hidden_group_size_x
      - .offset:         46
        .size:           2
        .value_kind:     hidden_group_size_y
      - .offset:         48
        .size:           2
        .value_kind:     hidden_group_size_z
      - .offset:         50
        .size:           2
        .value_kind:     hidden_remainder_x
      - .offset:         52
        .size:           2
        .value_kind:     hidden_remainder_y
      - .offset:         54
        .size:           2
        .value_kind:     hidden_remainder_z
      - .offset:         72
        .size:           8
        .value_kind:     hidden_global_offset_x
      - .offset:         80
        .size:           8
        .value_kind:     hidden_global_offset_y
      - .offset:         88
        .size:           8
        .value_kind:     hidden_global_offset_z
      - .offset:         96
        .size:           2
        .value_kind:     hidden_grid_dims
    .group_segment_fixed_size: 0
    .kernarg_segment_align: 8
    .kernarg_segment_size: 288
    .language:       OpenCL C
    .language_version:
      - 2
      - 0
    .max_flat_workgroup_size: 1024
    .name:           _Z13relextrema_1DIlEviibPKT_Pb
    .private_segment_fixed_size: 0
    .sgpr_count:     26
    .sgpr_spill_count: 0
    .symbol:         _Z13relextrema_1DIlEviibPKT_Pb.kd
    .uniform_work_group_size: 1
    .uses_dynamic_stack: false
    .vgpr_count:     20
    .vgpr_spill_count: 0
    .wavefront_size: 64
  - .args:
      - .offset:         0
        .size:           4
        .value_kind:     by_value
      - .offset:         4
        .size:           4
        .value_kind:     by_value
      - .offset:         8
        .size:           1
        .value_kind:     by_value
      - .actual_access:  read_only
        .address_space:  global
        .offset:         16
        .size:           8
        .value_kind:     global_buffer
      - .actual_access:  write_only
        .address_space:  global
        .offset:         24
        .size:           8
        .value_kind:     global_buffer
      - .offset:         32
        .size:           4
        .value_kind:     hidden_block_count_x
      - .offset:         36
        .size:           4
        .value_kind:     hidden_block_count_y
      - .offset:         40
        .size:           4
        .value_kind:     hidden_block_count_z
      - .offset:         44
        .size:           2
        .value_kind:     hidden_group_size_x
      - .offset:         46
        .size:           2
        .value_kind:     hidden_group_size_y
      - .offset:         48
        .size:           2
        .value_kind:     hidden_group_size_z
      - .offset:         50
        .size:           2
        .value_kind:     hidden_remainder_x
      - .offset:         52
        .size:           2
        .value_kind:     hidden_remainder_y
      - .offset:         54
        .size:           2
        .value_kind:     hidden_remainder_z
      - .offset:         72
        .size:           8
        .value_kind:     hidden_global_offset_x
      - .offset:         80
        .size:           8
        .value_kind:     hidden_global_offset_y
      - .offset:         88
        .size:           8
        .value_kind:     hidden_global_offset_z
      - .offset:         96
        .size:           2
        .value_kind:     hidden_grid_dims
    .group_segment_fixed_size: 0
    .kernarg_segment_align: 8
    .kernarg_segment_size: 288
    .language:       OpenCL C
    .language_version:
      - 2
      - 0
    .max_flat_workgroup_size: 1024
    .name:           _Z13relextrema_1DIfEviibPKT_Pb
    .private_segment_fixed_size: 0
    .sgpr_count:     26
    .sgpr_spill_count: 0
    .symbol:         _Z13relextrema_1DIfEviibPKT_Pb.kd
    .uniform_work_group_size: 1
    .uses_dynamic_stack: false
    .vgpr_count:     18
    .vgpr_spill_count: 0
    .wavefront_size: 64
  - .args:
      - .offset:         0
        .size:           4
        .value_kind:     by_value
      - .offset:         4
        .size:           4
        .value_kind:     by_value
      - .offset:         8
        .size:           1
        .value_kind:     by_value
      - .actual_access:  read_only
        .address_space:  global
        .offset:         16
        .size:           8
        .value_kind:     global_buffer
      - .actual_access:  write_only
        .address_space:  global
        .offset:         24
        .size:           8
        .value_kind:     global_buffer
      - .offset:         32
        .size:           4
        .value_kind:     hidden_block_count_x
      - .offset:         36
        .size:           4
        .value_kind:     hidden_block_count_y
      - .offset:         40
        .size:           4
        .value_kind:     hidden_block_count_z
      - .offset:         44
        .size:           2
        .value_kind:     hidden_group_size_x
      - .offset:         46
        .size:           2
        .value_kind:     hidden_group_size_y
      - .offset:         48
        .size:           2
        .value_kind:     hidden_group_size_z
      - .offset:         50
        .size:           2
        .value_kind:     hidden_remainder_x
      - .offset:         52
        .size:           2
        .value_kind:     hidden_remainder_y
      - .offset:         54
        .size:           2
        .value_kind:     hidden_remainder_z
      - .offset:         72
        .size:           8
        .value_kind:     hidden_global_offset_x
      - .offset:         80
        .size:           8
        .value_kind:     hidden_global_offset_y
      - .offset:         88
        .size:           8
        .value_kind:     hidden_global_offset_z
      - .offset:         96
        .size:           2
        .value_kind:     hidden_grid_dims
    .group_segment_fixed_size: 0
    .kernarg_segment_align: 8
    .kernarg_segment_size: 288
    .language:       OpenCL C
    .language_version:
      - 2
      - 0
    .max_flat_workgroup_size: 1024
    .name:           _Z13relextrema_1DIdEviibPKT_Pb
    .private_segment_fixed_size: 0
    .sgpr_count:     26
    .sgpr_spill_count: 0
    .symbol:         _Z13relextrema_1DIdEviibPKT_Pb.kd
    .uniform_work_group_size: 1
    .uses_dynamic_stack: false
    .vgpr_count:     20
    .vgpr_spill_count: 0
    .wavefront_size: 64
  - .args:
      - .offset:         0
        .size:           4
        .value_kind:     by_value
      - .offset:         4
        .size:           4
        .value_kind:     by_value
      - .offset:         8
        .size:           4
        .value_kind:     by_value
      - .offset:         12
        .size:           1
        .value_kind:     by_value
      - .offset:         16
        .size:           4
        .value_kind:     by_value
      - .actual_access:  read_only
        .address_space:  global
        .offset:         24
        .size:           8
        .value_kind:     global_buffer
      - .actual_access:  write_only
        .address_space:  global
        .offset:         32
        .size:           8
        .value_kind:     global_buffer
      - .offset:         40
        .size:           4
        .value_kind:     hidden_block_count_x
      - .offset:         44
        .size:           4
        .value_kind:     hidden_block_count_y
      - .offset:         48
        .size:           4
        .value_kind:     hidden_block_count_z
      - .offset:         52
        .size:           2
        .value_kind:     hidden_group_size_x
      - .offset:         54
        .size:           2
        .value_kind:     hidden_group_size_y
      - .offset:         56
        .size:           2
        .value_kind:     hidden_group_size_z
      - .offset:         58
        .size:           2
        .value_kind:     hidden_remainder_x
      - .offset:         60
        .size:           2
        .value_kind:     hidden_remainder_y
      - .offset:         62
        .size:           2
        .value_kind:     hidden_remainder_z
      - .offset:         80
        .size:           8
        .value_kind:     hidden_global_offset_x
      - .offset:         88
        .size:           8
        .value_kind:     hidden_global_offset_y
      - .offset:         96
        .size:           8
        .value_kind:     hidden_global_offset_z
      - .offset:         104
        .size:           2
        .value_kind:     hidden_grid_dims
    .group_segment_fixed_size: 0
    .kernarg_segment_align: 8
    .kernarg_segment_size: 296
    .language:       OpenCL C
    .language_version:
      - 2
      - 0
    .max_flat_workgroup_size: 1024
    .name:           _Z13relextrema_2DIiEviiibiPKT_Pb
    .private_segment_fixed_size: 0
    .sgpr_count:     21
    .sgpr_spill_count: 0
    .symbol:         _Z13relextrema_2DIiEviiibiPKT_Pb.kd
    .uniform_work_group_size: 1
    .uses_dynamic_stack: false
    .vgpr_count:     13
    .vgpr_spill_count: 0
    .wavefront_size: 64
  - .args:
      - .offset:         0
        .size:           4
        .value_kind:     by_value
      - .offset:         4
        .size:           4
        .value_kind:     by_value
      - .offset:         8
        .size:           4
        .value_kind:     by_value
      - .offset:         12
        .size:           1
        .value_kind:     by_value
      - .offset:         16
        .size:           4
        .value_kind:     by_value
      - .actual_access:  read_only
        .address_space:  global
        .offset:         24
        .size:           8
        .value_kind:     global_buffer
      - .actual_access:  write_only
        .address_space:  global
        .offset:         32
        .size:           8
        .value_kind:     global_buffer
      - .offset:         40
        .size:           4
        .value_kind:     hidden_block_count_x
      - .offset:         44
        .size:           4
        .value_kind:     hidden_block_count_y
      - .offset:         48
        .size:           4
        .value_kind:     hidden_block_count_z
      - .offset:         52
        .size:           2
        .value_kind:     hidden_group_size_x
      - .offset:         54
        .size:           2
        .value_kind:     hidden_group_size_y
      - .offset:         56
        .size:           2
        .value_kind:     hidden_group_size_z
      - .offset:         58
        .size:           2
        .value_kind:     hidden_remainder_x
      - .offset:         60
        .size:           2
        .value_kind:     hidden_remainder_y
      - .offset:         62
        .size:           2
        .value_kind:     hidden_remainder_z
      - .offset:         80
        .size:           8
        .value_kind:     hidden_global_offset_x
      - .offset:         88
        .size:           8
        .value_kind:     hidden_global_offset_y
      - .offset:         96
        .size:           8
        .value_kind:     hidden_global_offset_z
      - .offset:         104
        .size:           2
        .value_kind:     hidden_grid_dims
    .group_segment_fixed_size: 0
    .kernarg_segment_align: 8
    .kernarg_segment_size: 296
    .language:       OpenCL C
    .language_version:
      - 2
      - 0
    .max_flat_workgroup_size: 1024
    .name:           _Z13relextrema_2DIlEviiibiPKT_Pb
    .private_segment_fixed_size: 0
    .sgpr_count:     21
    .sgpr_spill_count: 0
    .symbol:         _Z13relextrema_2DIlEviiibiPKT_Pb.kd
    .uniform_work_group_size: 1
    .uses_dynamic_stack: false
    .vgpr_count:     16
    .vgpr_spill_count: 0
    .wavefront_size: 64
  - .args:
      - .offset:         0
        .size:           4
        .value_kind:     by_value
      - .offset:         4
        .size:           4
        .value_kind:     by_value
      - .offset:         8
        .size:           4
        .value_kind:     by_value
      - .offset:         12
        .size:           1
        .value_kind:     by_value
      - .offset:         16
        .size:           4
        .value_kind:     by_value
      - .actual_access:  read_only
        .address_space:  global
        .offset:         24
        .size:           8
        .value_kind:     global_buffer
      - .actual_access:  write_only
        .address_space:  global
        .offset:         32
        .size:           8
        .value_kind:     global_buffer
      - .offset:         40
        .size:           4
        .value_kind:     hidden_block_count_x
      - .offset:         44
        .size:           4
        .value_kind:     hidden_block_count_y
      - .offset:         48
        .size:           4
        .value_kind:     hidden_block_count_z
      - .offset:         52
        .size:           2
        .value_kind:     hidden_group_size_x
      - .offset:         54
        .size:           2
        .value_kind:     hidden_group_size_y
      - .offset:         56
        .size:           2
        .value_kind:     hidden_group_size_z
      - .offset:         58
        .size:           2
        .value_kind:     hidden_remainder_x
      - .offset:         60
        .size:           2
        .value_kind:     hidden_remainder_y
      - .offset:         62
        .size:           2
        .value_kind:     hidden_remainder_z
      - .offset:         80
        .size:           8
        .value_kind:     hidden_global_offset_x
      - .offset:         88
        .size:           8
        .value_kind:     hidden_global_offset_y
      - .offset:         96
        .size:           8
        .value_kind:     hidden_global_offset_z
      - .offset:         104
        .size:           2
        .value_kind:     hidden_grid_dims
    .group_segment_fixed_size: 0
    .kernarg_segment_align: 8
    .kernarg_segment_size: 296
    .language:       OpenCL C
    .language_version:
      - 2
      - 0
    .max_flat_workgroup_size: 1024
    .name:           _Z13relextrema_2DIfEviiibiPKT_Pb
    .private_segment_fixed_size: 0
    .sgpr_count:     21
    .sgpr_spill_count: 0
    .symbol:         _Z13relextrema_2DIfEviiibiPKT_Pb.kd
    .uniform_work_group_size: 1
    .uses_dynamic_stack: false
    .vgpr_count:     13
    .vgpr_spill_count: 0
    .wavefront_size: 64
  - .args:
      - .offset:         0
        .size:           4
        .value_kind:     by_value
      - .offset:         4
        .size:           4
        .value_kind:     by_value
      - .offset:         8
        .size:           4
        .value_kind:     by_value
      - .offset:         12
        .size:           1
        .value_kind:     by_value
      - .offset:         16
        .size:           4
        .value_kind:     by_value
      - .actual_access:  read_only
        .address_space:  global
        .offset:         24
        .size:           8
        .value_kind:     global_buffer
      - .actual_access:  write_only
        .address_space:  global
        .offset:         32
        .size:           8
        .value_kind:     global_buffer
      - .offset:         40
        .size:           4
        .value_kind:     hidden_block_count_x
      - .offset:         44
        .size:           4
        .value_kind:     hidden_block_count_y
      - .offset:         48
        .size:           4
        .value_kind:     hidden_block_count_z
      - .offset:         52
        .size:           2
        .value_kind:     hidden_group_size_x
      - .offset:         54
        .size:           2
        .value_kind:     hidden_group_size_y
      - .offset:         56
        .size:           2
        .value_kind:     hidden_group_size_z
      - .offset:         58
        .size:           2
        .value_kind:     hidden_remainder_x
      - .offset:         60
        .size:           2
        .value_kind:     hidden_remainder_y
      - .offset:         62
        .size:           2
        .value_kind:     hidden_remainder_z
      - .offset:         80
        .size:           8
        .value_kind:     hidden_global_offset_x
      - .offset:         88
        .size:           8
        .value_kind:     hidden_global_offset_y
      - .offset:         96
        .size:           8
        .value_kind:     hidden_global_offset_z
      - .offset:         104
        .size:           2
        .value_kind:     hidden_grid_dims
    .group_segment_fixed_size: 0
    .kernarg_segment_align: 8
    .kernarg_segment_size: 296
    .language:       OpenCL C
    .language_version:
      - 2
      - 0
    .max_flat_workgroup_size: 1024
    .name:           _Z13relextrema_2DIdEviiibiPKT_Pb
    .private_segment_fixed_size: 0
    .sgpr_count:     21
    .sgpr_spill_count: 0
    .symbol:         _Z13relextrema_2DIdEviiibiPKT_Pb.kd
    .uniform_work_group_size: 1
    .uses_dynamic_stack: false
    .vgpr_count:     16
    .vgpr_spill_count: 0
    .wavefront_size: 64
amdhsa.target:   amdgcn-amd-amdhsa--gfx906
amdhsa.version:
  - 1
  - 2
...

	.end_amdgpu_metadata
